;; amdgpu-corpus repo=pytorch/pytorch kind=compiled arch=gfx90a opt=O3
	.text
	.amdgcn_target "amdgcn-amd-amdhsa--gfx90a"
	.amdhsa_code_object_version 6
	.section	.text._ZN7rocprim17ROCPRIM_304000_NS6detail31init_lookback_scan_state_kernelINS1_19lookback_scan_stateIiLb1ELb1EEEEEvT_jjPNS5_10value_typeE,"axG",@progbits,_ZN7rocprim17ROCPRIM_304000_NS6detail31init_lookback_scan_state_kernelINS1_19lookback_scan_stateIiLb1ELb1EEEEEvT_jjPNS5_10value_typeE,comdat
	.protected	_ZN7rocprim17ROCPRIM_304000_NS6detail31init_lookback_scan_state_kernelINS1_19lookback_scan_stateIiLb1ELb1EEEEEvT_jjPNS5_10value_typeE ; -- Begin function _ZN7rocprim17ROCPRIM_304000_NS6detail31init_lookback_scan_state_kernelINS1_19lookback_scan_stateIiLb1ELb1EEEEEvT_jjPNS5_10value_typeE
	.globl	_ZN7rocprim17ROCPRIM_304000_NS6detail31init_lookback_scan_state_kernelINS1_19lookback_scan_stateIiLb1ELb1EEEEEvT_jjPNS5_10value_typeE
	.p2align	8
	.type	_ZN7rocprim17ROCPRIM_304000_NS6detail31init_lookback_scan_state_kernelINS1_19lookback_scan_stateIiLb1ELb1EEEEEvT_jjPNS5_10value_typeE,@function
_ZN7rocprim17ROCPRIM_304000_NS6detail31init_lookback_scan_state_kernelINS1_19lookback_scan_stateIiLb1ELb1EEEEEvT_jjPNS5_10value_typeE: ; @_ZN7rocprim17ROCPRIM_304000_NS6detail31init_lookback_scan_state_kernelINS1_19lookback_scan_stateIiLb1ELb1EEEEEvT_jjPNS5_10value_typeE
; %bb.0:
	s_load_dword s7, s[4:5], 0x24
	s_load_dwordx2 s[8:9], s[4:5], 0x10
	s_load_dwordx4 s[0:3], s[4:5], 0x0
	s_waitcnt lgkmcnt(0)
	s_and_b32 s4, s7, 0xffff
	s_mul_i32 s6, s6, s4
	s_cmp_eq_u64 s[8:9], 0
	v_add_u32_e32 v0, s6, v0
	s_cbranch_scc1 .LBB0_9
; %bb.1:
	s_cmp_lt_u32 s3, s2
	s_cselect_b32 s4, s3, 0
	s_mov_b32 s7, 0
	v_cmp_eq_u32_e32 vcc, s4, v0
	s_and_saveexec_b64 s[4:5], vcc
	s_cbranch_execz .LBB0_8
; %bb.2:
	s_add_i32 s6, s3, 64
	s_lshl_b64 s[6:7], s[6:7], 3
	s_add_u32 s6, s0, s6
	s_addc_u32 s7, s1, s7
	v_mov_b32_e32 v2, 0
	global_load_dwordx2 v[4:5], v2, s[6:7] glc
	s_waitcnt vmcnt(0)
	v_and_b32_e32 v3, 0xff, v5
	v_cmp_ne_u64_e32 vcc, 0, v[2:3]
	s_cbranch_vccnz .LBB0_7
; %bb.3:
	s_mov_b32 s3, 1
.LBB0_4:                                ; =>This Loop Header: Depth=1
                                        ;     Child Loop BB0_5 Depth 2
	s_max_u32 s10, s3, 1
.LBB0_5:                                ;   Parent Loop BB0_4 Depth=1
                                        ; =>  This Inner Loop Header: Depth=2
	s_add_i32 s10, s10, -1
	s_cmp_eq_u32 s10, 0
	s_sleep 1
	s_cbranch_scc0 .LBB0_5
; %bb.6:                                ;   in Loop: Header=BB0_4 Depth=1
	global_load_dwordx2 v[4:5], v2, s[6:7] glc
	s_cmp_lt_u32 s3, 32
	s_cselect_b64 s[10:11], -1, 0
	s_cmp_lg_u64 s[10:11], 0
	s_addc_u32 s3, s3, 0
	s_waitcnt vmcnt(0)
	v_and_b32_e32 v3, 0xff, v5
	v_cmp_ne_u64_e32 vcc, 0, v[2:3]
	s_cbranch_vccz .LBB0_4
.LBB0_7:
	v_mov_b32_e32 v1, 0
	global_store_dword v1, v4, s[8:9]
.LBB0_8:
	s_or_b64 exec, exec, s[4:5]
.LBB0_9:
	v_cmp_gt_u32_e32 vcc, s2, v0
	s_and_saveexec_b64 s[2:3], vcc
	s_cbranch_execnz .LBB0_12
; %bb.10:
	s_or_b64 exec, exec, s[2:3]
	v_cmp_gt_u32_e32 vcc, 64, v0
	s_and_saveexec_b64 s[2:3], vcc
	s_cbranch_execnz .LBB0_13
.LBB0_11:
	s_endpgm
.LBB0_12:
	v_add_u32_e32 v2, 64, v0
	v_mov_b32_e32 v3, 0
	v_lshlrev_b64 v[4:5], 3, v[2:3]
	v_mov_b32_e32 v1, s1
	v_add_co_u32_e32 v4, vcc, s0, v4
	v_addc_co_u32_e32 v5, vcc, v1, v5, vcc
	v_mov_b32_e32 v2, v3
	global_store_dwordx2 v[4:5], v[2:3], off
	s_or_b64 exec, exec, s[2:3]
	v_cmp_gt_u32_e32 vcc, 64, v0
	s_and_saveexec_b64 s[2:3], vcc
	s_cbranch_execz .LBB0_11
.LBB0_13:
	v_mov_b32_e32 v1, 0
	v_lshlrev_b64 v[2:3], 3, v[0:1]
	v_mov_b32_e32 v0, s1
	v_add_co_u32_e32 v2, vcc, s0, v2
	v_addc_co_u32_e32 v3, vcc, v0, v3, vcc
	v_mov_b32_e32 v5, 0xff
	v_mov_b32_e32 v4, v1
	global_store_dwordx2 v[2:3], v[4:5], off
	s_endpgm
	.section	.rodata,"a",@progbits
	.p2align	6, 0x0
	.amdhsa_kernel _ZN7rocprim17ROCPRIM_304000_NS6detail31init_lookback_scan_state_kernelINS1_19lookback_scan_stateIiLb1ELb1EEEEEvT_jjPNS5_10value_typeE
		.amdhsa_group_segment_fixed_size 0
		.amdhsa_private_segment_fixed_size 0
		.amdhsa_kernarg_size 280
		.amdhsa_user_sgpr_count 6
		.amdhsa_user_sgpr_private_segment_buffer 1
		.amdhsa_user_sgpr_dispatch_ptr 0
		.amdhsa_user_sgpr_queue_ptr 0
		.amdhsa_user_sgpr_kernarg_segment_ptr 1
		.amdhsa_user_sgpr_dispatch_id 0
		.amdhsa_user_sgpr_flat_scratch_init 0
		.amdhsa_user_sgpr_kernarg_preload_length 0
		.amdhsa_user_sgpr_kernarg_preload_offset 0
		.amdhsa_user_sgpr_private_segment_size 0
		.amdhsa_uses_dynamic_stack 0
		.amdhsa_system_sgpr_private_segment_wavefront_offset 0
		.amdhsa_system_sgpr_workgroup_id_x 1
		.amdhsa_system_sgpr_workgroup_id_y 0
		.amdhsa_system_sgpr_workgroup_id_z 0
		.amdhsa_system_sgpr_workgroup_info 0
		.amdhsa_system_vgpr_workitem_id 0
		.amdhsa_next_free_vgpr 6
		.amdhsa_next_free_sgpr 12
		.amdhsa_accum_offset 8
		.amdhsa_reserve_vcc 1
		.amdhsa_reserve_flat_scratch 0
		.amdhsa_float_round_mode_32 0
		.amdhsa_float_round_mode_16_64 0
		.amdhsa_float_denorm_mode_32 3
		.amdhsa_float_denorm_mode_16_64 3
		.amdhsa_dx10_clamp 1
		.amdhsa_ieee_mode 1
		.amdhsa_fp16_overflow 0
		.amdhsa_tg_split 0
		.amdhsa_exception_fp_ieee_invalid_op 0
		.amdhsa_exception_fp_denorm_src 0
		.amdhsa_exception_fp_ieee_div_zero 0
		.amdhsa_exception_fp_ieee_overflow 0
		.amdhsa_exception_fp_ieee_underflow 0
		.amdhsa_exception_fp_ieee_inexact 0
		.amdhsa_exception_int_div_zero 0
	.end_amdhsa_kernel
	.section	.text._ZN7rocprim17ROCPRIM_304000_NS6detail31init_lookback_scan_state_kernelINS1_19lookback_scan_stateIiLb1ELb1EEEEEvT_jjPNS5_10value_typeE,"axG",@progbits,_ZN7rocprim17ROCPRIM_304000_NS6detail31init_lookback_scan_state_kernelINS1_19lookback_scan_stateIiLb1ELb1EEEEEvT_jjPNS5_10value_typeE,comdat
.Lfunc_end0:
	.size	_ZN7rocprim17ROCPRIM_304000_NS6detail31init_lookback_scan_state_kernelINS1_19lookback_scan_stateIiLb1ELb1EEEEEvT_jjPNS5_10value_typeE, .Lfunc_end0-_ZN7rocprim17ROCPRIM_304000_NS6detail31init_lookback_scan_state_kernelINS1_19lookback_scan_stateIiLb1ELb1EEEEEvT_jjPNS5_10value_typeE
                                        ; -- End function
	.section	.AMDGPU.csdata,"",@progbits
; Kernel info:
; codeLenInByte = 344
; NumSgprs: 16
; NumVgprs: 6
; NumAgprs: 0
; TotalNumVgprs: 6
; ScratchSize: 0
; MemoryBound: 0
; FloatMode: 240
; IeeeMode: 1
; LDSByteSize: 0 bytes/workgroup (compile time only)
; SGPRBlocks: 1
; VGPRBlocks: 0
; NumSGPRsForWavesPerEU: 16
; NumVGPRsForWavesPerEU: 6
; AccumOffset: 8
; Occupancy: 8
; WaveLimiterHint : 0
; COMPUTE_PGM_RSRC2:SCRATCH_EN: 0
; COMPUTE_PGM_RSRC2:USER_SGPR: 6
; COMPUTE_PGM_RSRC2:TRAP_HANDLER: 0
; COMPUTE_PGM_RSRC2:TGID_X_EN: 1
; COMPUTE_PGM_RSRC2:TGID_Y_EN: 0
; COMPUTE_PGM_RSRC2:TGID_Z_EN: 0
; COMPUTE_PGM_RSRC2:TIDIG_COMP_CNT: 0
; COMPUTE_PGM_RSRC3_GFX90A:ACCUM_OFFSET: 1
; COMPUTE_PGM_RSRC3_GFX90A:TG_SPLIT: 0
	.section	.text._ZN7rocprim17ROCPRIM_304000_NS6detail31init_lookback_scan_state_kernelINS1_19lookback_scan_stateIiLb0ELb1EEEEEvT_jjPNS5_10value_typeE,"axG",@progbits,_ZN7rocprim17ROCPRIM_304000_NS6detail31init_lookback_scan_state_kernelINS1_19lookback_scan_stateIiLb0ELb1EEEEEvT_jjPNS5_10value_typeE,comdat
	.protected	_ZN7rocprim17ROCPRIM_304000_NS6detail31init_lookback_scan_state_kernelINS1_19lookback_scan_stateIiLb0ELb1EEEEEvT_jjPNS5_10value_typeE ; -- Begin function _ZN7rocprim17ROCPRIM_304000_NS6detail31init_lookback_scan_state_kernelINS1_19lookback_scan_stateIiLb0ELb1EEEEEvT_jjPNS5_10value_typeE
	.globl	_ZN7rocprim17ROCPRIM_304000_NS6detail31init_lookback_scan_state_kernelINS1_19lookback_scan_stateIiLb0ELb1EEEEEvT_jjPNS5_10value_typeE
	.p2align	8
	.type	_ZN7rocprim17ROCPRIM_304000_NS6detail31init_lookback_scan_state_kernelINS1_19lookback_scan_stateIiLb0ELb1EEEEEvT_jjPNS5_10value_typeE,@function
_ZN7rocprim17ROCPRIM_304000_NS6detail31init_lookback_scan_state_kernelINS1_19lookback_scan_stateIiLb0ELb1EEEEEvT_jjPNS5_10value_typeE: ; @_ZN7rocprim17ROCPRIM_304000_NS6detail31init_lookback_scan_state_kernelINS1_19lookback_scan_stateIiLb0ELb1EEEEEvT_jjPNS5_10value_typeE
; %bb.0:
	s_load_dword s7, s[4:5], 0x24
	s_load_dwordx2 s[8:9], s[4:5], 0x10
	s_load_dwordx4 s[0:3], s[4:5], 0x0
	s_waitcnt lgkmcnt(0)
	s_and_b32 s4, s7, 0xffff
	s_mul_i32 s6, s6, s4
	s_cmp_eq_u64 s[8:9], 0
	v_add_u32_e32 v0, s6, v0
	s_cbranch_scc1 .LBB1_6
; %bb.1:
	s_cmp_lt_u32 s3, s2
	s_cselect_b32 s4, s3, 0
	s_mov_b32 s7, 0
	v_cmp_eq_u32_e32 vcc, s4, v0
	s_and_saveexec_b64 s[4:5], vcc
	s_cbranch_execz .LBB1_5
; %bb.2:
	s_add_i32 s6, s3, 64
	s_lshl_b64 s[6:7], s[6:7], 3
	s_add_u32 s6, s0, s6
	s_addc_u32 s7, s1, s7
	v_mov_b32_e32 v4, 0
	global_load_dwordx2 v[2:3], v4, s[6:7] glc
	s_waitcnt vmcnt(0)
	v_and_b32_e32 v5, 0xff, v3
	v_cmp_ne_u64_e32 vcc, 0, v[4:5]
	s_cbranch_vccnz .LBB1_4
.LBB1_3:                                ; =>This Inner Loop Header: Depth=1
	global_load_dwordx2 v[2:3], v4, s[6:7] glc
	s_waitcnt vmcnt(0)
	v_and_b32_e32 v5, 0xff, v3
	v_cmp_eq_u64_e32 vcc, 0, v[4:5]
	s_cbranch_vccnz .LBB1_3
.LBB1_4:
	v_mov_b32_e32 v1, 0
	global_store_dword v1, v2, s[8:9]
.LBB1_5:
	s_or_b64 exec, exec, s[4:5]
.LBB1_6:
	v_cmp_gt_u32_e32 vcc, s2, v0
	s_and_saveexec_b64 s[2:3], vcc
	s_cbranch_execnz .LBB1_9
; %bb.7:
	s_or_b64 exec, exec, s[2:3]
	v_cmp_gt_u32_e32 vcc, 64, v0
	s_and_saveexec_b64 s[2:3], vcc
	s_cbranch_execnz .LBB1_10
.LBB1_8:
	s_endpgm
.LBB1_9:
	v_add_u32_e32 v2, 64, v0
	v_mov_b32_e32 v3, 0
	v_lshlrev_b64 v[4:5], 3, v[2:3]
	v_mov_b32_e32 v1, s1
	v_add_co_u32_e32 v4, vcc, s0, v4
	v_addc_co_u32_e32 v5, vcc, v1, v5, vcc
	v_mov_b32_e32 v2, v3
	global_store_dwordx2 v[4:5], v[2:3], off
	s_or_b64 exec, exec, s[2:3]
	v_cmp_gt_u32_e32 vcc, 64, v0
	s_and_saveexec_b64 s[2:3], vcc
	s_cbranch_execz .LBB1_8
.LBB1_10:
	v_mov_b32_e32 v1, 0
	v_lshlrev_b64 v[2:3], 3, v[0:1]
	v_mov_b32_e32 v0, s1
	v_add_co_u32_e32 v2, vcc, s0, v2
	v_addc_co_u32_e32 v3, vcc, v0, v3, vcc
	v_mov_b32_e32 v5, 0xff
	v_mov_b32_e32 v4, v1
	global_store_dwordx2 v[2:3], v[4:5], off
	s_endpgm
	.section	.rodata,"a",@progbits
	.p2align	6, 0x0
	.amdhsa_kernel _ZN7rocprim17ROCPRIM_304000_NS6detail31init_lookback_scan_state_kernelINS1_19lookback_scan_stateIiLb0ELb1EEEEEvT_jjPNS5_10value_typeE
		.amdhsa_group_segment_fixed_size 0
		.amdhsa_private_segment_fixed_size 0
		.amdhsa_kernarg_size 280
		.amdhsa_user_sgpr_count 6
		.amdhsa_user_sgpr_private_segment_buffer 1
		.amdhsa_user_sgpr_dispatch_ptr 0
		.amdhsa_user_sgpr_queue_ptr 0
		.amdhsa_user_sgpr_kernarg_segment_ptr 1
		.amdhsa_user_sgpr_dispatch_id 0
		.amdhsa_user_sgpr_flat_scratch_init 0
		.amdhsa_user_sgpr_kernarg_preload_length 0
		.amdhsa_user_sgpr_kernarg_preload_offset 0
		.amdhsa_user_sgpr_private_segment_size 0
		.amdhsa_uses_dynamic_stack 0
		.amdhsa_system_sgpr_private_segment_wavefront_offset 0
		.amdhsa_system_sgpr_workgroup_id_x 1
		.amdhsa_system_sgpr_workgroup_id_y 0
		.amdhsa_system_sgpr_workgroup_id_z 0
		.amdhsa_system_sgpr_workgroup_info 0
		.amdhsa_system_vgpr_workitem_id 0
		.amdhsa_next_free_vgpr 6
		.amdhsa_next_free_sgpr 10
		.amdhsa_accum_offset 8
		.amdhsa_reserve_vcc 1
		.amdhsa_reserve_flat_scratch 0
		.amdhsa_float_round_mode_32 0
		.amdhsa_float_round_mode_16_64 0
		.amdhsa_float_denorm_mode_32 3
		.amdhsa_float_denorm_mode_16_64 3
		.amdhsa_dx10_clamp 1
		.amdhsa_ieee_mode 1
		.amdhsa_fp16_overflow 0
		.amdhsa_tg_split 0
		.amdhsa_exception_fp_ieee_invalid_op 0
		.amdhsa_exception_fp_denorm_src 0
		.amdhsa_exception_fp_ieee_div_zero 0
		.amdhsa_exception_fp_ieee_overflow 0
		.amdhsa_exception_fp_ieee_underflow 0
		.amdhsa_exception_fp_ieee_inexact 0
		.amdhsa_exception_int_div_zero 0
	.end_amdhsa_kernel
	.section	.text._ZN7rocprim17ROCPRIM_304000_NS6detail31init_lookback_scan_state_kernelINS1_19lookback_scan_stateIiLb0ELb1EEEEEvT_jjPNS5_10value_typeE,"axG",@progbits,_ZN7rocprim17ROCPRIM_304000_NS6detail31init_lookback_scan_state_kernelINS1_19lookback_scan_stateIiLb0ELb1EEEEEvT_jjPNS5_10value_typeE,comdat
.Lfunc_end1:
	.size	_ZN7rocprim17ROCPRIM_304000_NS6detail31init_lookback_scan_state_kernelINS1_19lookback_scan_stateIiLb0ELb1EEEEEvT_jjPNS5_10value_typeE, .Lfunc_end1-_ZN7rocprim17ROCPRIM_304000_NS6detail31init_lookback_scan_state_kernelINS1_19lookback_scan_stateIiLb0ELb1EEEEEvT_jjPNS5_10value_typeE
                                        ; -- End function
	.section	.AMDGPU.csdata,"",@progbits
; Kernel info:
; codeLenInByte = 304
; NumSgprs: 14
; NumVgprs: 6
; NumAgprs: 0
; TotalNumVgprs: 6
; ScratchSize: 0
; MemoryBound: 0
; FloatMode: 240
; IeeeMode: 1
; LDSByteSize: 0 bytes/workgroup (compile time only)
; SGPRBlocks: 1
; VGPRBlocks: 0
; NumSGPRsForWavesPerEU: 14
; NumVGPRsForWavesPerEU: 6
; AccumOffset: 8
; Occupancy: 8
; WaveLimiterHint : 0
; COMPUTE_PGM_RSRC2:SCRATCH_EN: 0
; COMPUTE_PGM_RSRC2:USER_SGPR: 6
; COMPUTE_PGM_RSRC2:TRAP_HANDLER: 0
; COMPUTE_PGM_RSRC2:TGID_X_EN: 1
; COMPUTE_PGM_RSRC2:TGID_Y_EN: 0
; COMPUTE_PGM_RSRC2:TGID_Z_EN: 0
; COMPUTE_PGM_RSRC2:TIDIG_COMP_CNT: 0
; COMPUTE_PGM_RSRC3_GFX90A:ACCUM_OFFSET: 1
; COMPUTE_PGM_RSRC3_GFX90A:TG_SPLIT: 0
	.section	.text._ZN7rocprim17ROCPRIM_304000_NS6detail20lookback_scan_kernelILNS1_25lookback_scan_determinismE0ELb0ENS1_19wrapped_scan_configINS0_14default_configEiEEPKiPiSt4plusIvEiiNS1_19lookback_scan_stateIiLb1ELb1EEEEEvT2_T3_mT5_T4_T7_jPT6_SK_bb,"axG",@progbits,_ZN7rocprim17ROCPRIM_304000_NS6detail20lookback_scan_kernelILNS1_25lookback_scan_determinismE0ELb0ENS1_19wrapped_scan_configINS0_14default_configEiEEPKiPiSt4plusIvEiiNS1_19lookback_scan_stateIiLb1ELb1EEEEEvT2_T3_mT5_T4_T7_jPT6_SK_bb,comdat
	.protected	_ZN7rocprim17ROCPRIM_304000_NS6detail20lookback_scan_kernelILNS1_25lookback_scan_determinismE0ELb0ENS1_19wrapped_scan_configINS0_14default_configEiEEPKiPiSt4plusIvEiiNS1_19lookback_scan_stateIiLb1ELb1EEEEEvT2_T3_mT5_T4_T7_jPT6_SK_bb ; -- Begin function _ZN7rocprim17ROCPRIM_304000_NS6detail20lookback_scan_kernelILNS1_25lookback_scan_determinismE0ELb0ENS1_19wrapped_scan_configINS0_14default_configEiEEPKiPiSt4plusIvEiiNS1_19lookback_scan_stateIiLb1ELb1EEEEEvT2_T3_mT5_T4_T7_jPT6_SK_bb
	.globl	_ZN7rocprim17ROCPRIM_304000_NS6detail20lookback_scan_kernelILNS1_25lookback_scan_determinismE0ELb0ENS1_19wrapped_scan_configINS0_14default_configEiEEPKiPiSt4plusIvEiiNS1_19lookback_scan_stateIiLb1ELb1EEEEEvT2_T3_mT5_T4_T7_jPT6_SK_bb
	.p2align	8
	.type	_ZN7rocprim17ROCPRIM_304000_NS6detail20lookback_scan_kernelILNS1_25lookback_scan_determinismE0ELb0ENS1_19wrapped_scan_configINS0_14default_configEiEEPKiPiSt4plusIvEiiNS1_19lookback_scan_stateIiLb1ELb1EEEEEvT2_T3_mT5_T4_T7_jPT6_SK_bb,@function
_ZN7rocprim17ROCPRIM_304000_NS6detail20lookback_scan_kernelILNS1_25lookback_scan_determinismE0ELb0ENS1_19wrapped_scan_configINS0_14default_configEiEEPKiPiSt4plusIvEiiNS1_19lookback_scan_stateIiLb1ELb1EEEEEvT2_T3_mT5_T4_T7_jPT6_SK_bb: ; @_ZN7rocprim17ROCPRIM_304000_NS6detail20lookback_scan_kernelILNS1_25lookback_scan_determinismE0ELb0ENS1_19wrapped_scan_configINS0_14default_configEiEEPKiPiSt4plusIvEiiNS1_19lookback_scan_stateIiLb1ELb1EEEEEvT2_T3_mT5_T4_T7_jPT6_SK_bb
; %bb.0:
	s_endpgm
	.section	.rodata,"a",@progbits
	.p2align	6, 0x0
	.amdhsa_kernel _ZN7rocprim17ROCPRIM_304000_NS6detail20lookback_scan_kernelILNS1_25lookback_scan_determinismE0ELb0ENS1_19wrapped_scan_configINS0_14default_configEiEEPKiPiSt4plusIvEiiNS1_19lookback_scan_stateIiLb1ELb1EEEEEvT2_T3_mT5_T4_T7_jPT6_SK_bb
		.amdhsa_group_segment_fixed_size 0
		.amdhsa_private_segment_fixed_size 0
		.amdhsa_kernarg_size 68
		.amdhsa_user_sgpr_count 6
		.amdhsa_user_sgpr_private_segment_buffer 1
		.amdhsa_user_sgpr_dispatch_ptr 0
		.amdhsa_user_sgpr_queue_ptr 0
		.amdhsa_user_sgpr_kernarg_segment_ptr 1
		.amdhsa_user_sgpr_dispatch_id 0
		.amdhsa_user_sgpr_flat_scratch_init 0
		.amdhsa_user_sgpr_kernarg_preload_length 0
		.amdhsa_user_sgpr_kernarg_preload_offset 0
		.amdhsa_user_sgpr_private_segment_size 0
		.amdhsa_uses_dynamic_stack 0
		.amdhsa_system_sgpr_private_segment_wavefront_offset 0
		.amdhsa_system_sgpr_workgroup_id_x 1
		.amdhsa_system_sgpr_workgroup_id_y 0
		.amdhsa_system_sgpr_workgroup_id_z 0
		.amdhsa_system_sgpr_workgroup_info 0
		.amdhsa_system_vgpr_workitem_id 0
		.amdhsa_next_free_vgpr 1
		.amdhsa_next_free_sgpr 0
		.amdhsa_accum_offset 4
		.amdhsa_reserve_vcc 0
		.amdhsa_reserve_flat_scratch 0
		.amdhsa_float_round_mode_32 0
		.amdhsa_float_round_mode_16_64 0
		.amdhsa_float_denorm_mode_32 3
		.amdhsa_float_denorm_mode_16_64 3
		.amdhsa_dx10_clamp 1
		.amdhsa_ieee_mode 1
		.amdhsa_fp16_overflow 0
		.amdhsa_tg_split 0
		.amdhsa_exception_fp_ieee_invalid_op 0
		.amdhsa_exception_fp_denorm_src 0
		.amdhsa_exception_fp_ieee_div_zero 0
		.amdhsa_exception_fp_ieee_overflow 0
		.amdhsa_exception_fp_ieee_underflow 0
		.amdhsa_exception_fp_ieee_inexact 0
		.amdhsa_exception_int_div_zero 0
	.end_amdhsa_kernel
	.section	.text._ZN7rocprim17ROCPRIM_304000_NS6detail20lookback_scan_kernelILNS1_25lookback_scan_determinismE0ELb0ENS1_19wrapped_scan_configINS0_14default_configEiEEPKiPiSt4plusIvEiiNS1_19lookback_scan_stateIiLb1ELb1EEEEEvT2_T3_mT5_T4_T7_jPT6_SK_bb,"axG",@progbits,_ZN7rocprim17ROCPRIM_304000_NS6detail20lookback_scan_kernelILNS1_25lookback_scan_determinismE0ELb0ENS1_19wrapped_scan_configINS0_14default_configEiEEPKiPiSt4plusIvEiiNS1_19lookback_scan_stateIiLb1ELb1EEEEEvT2_T3_mT5_T4_T7_jPT6_SK_bb,comdat
.Lfunc_end2:
	.size	_ZN7rocprim17ROCPRIM_304000_NS6detail20lookback_scan_kernelILNS1_25lookback_scan_determinismE0ELb0ENS1_19wrapped_scan_configINS0_14default_configEiEEPKiPiSt4plusIvEiiNS1_19lookback_scan_stateIiLb1ELb1EEEEEvT2_T3_mT5_T4_T7_jPT6_SK_bb, .Lfunc_end2-_ZN7rocprim17ROCPRIM_304000_NS6detail20lookback_scan_kernelILNS1_25lookback_scan_determinismE0ELb0ENS1_19wrapped_scan_configINS0_14default_configEiEEPKiPiSt4plusIvEiiNS1_19lookback_scan_stateIiLb1ELb1EEEEEvT2_T3_mT5_T4_T7_jPT6_SK_bb
                                        ; -- End function
	.section	.AMDGPU.csdata,"",@progbits
; Kernel info:
; codeLenInByte = 4
; NumSgprs: 4
; NumVgprs: 0
; NumAgprs: 0
; TotalNumVgprs: 0
; ScratchSize: 0
; MemoryBound: 0
; FloatMode: 240
; IeeeMode: 1
; LDSByteSize: 0 bytes/workgroup (compile time only)
; SGPRBlocks: 0
; VGPRBlocks: 0
; NumSGPRsForWavesPerEU: 4
; NumVGPRsForWavesPerEU: 1
; AccumOffset: 4
; Occupancy: 8
; WaveLimiterHint : 0
; COMPUTE_PGM_RSRC2:SCRATCH_EN: 0
; COMPUTE_PGM_RSRC2:USER_SGPR: 6
; COMPUTE_PGM_RSRC2:TRAP_HANDLER: 0
; COMPUTE_PGM_RSRC2:TGID_X_EN: 1
; COMPUTE_PGM_RSRC2:TGID_Y_EN: 0
; COMPUTE_PGM_RSRC2:TGID_Z_EN: 0
; COMPUTE_PGM_RSRC2:TIDIG_COMP_CNT: 0
; COMPUTE_PGM_RSRC3_GFX90A:ACCUM_OFFSET: 0
; COMPUTE_PGM_RSRC3_GFX90A:TG_SPLIT: 0
	.section	.text._ZN7rocprim17ROCPRIM_304000_NS6detail20lookback_scan_kernelILNS1_25lookback_scan_determinismE0ELb0ENS1_19wrapped_scan_configINS0_14default_configEiEEPKiPiSt4plusIvEiiNS1_19lookback_scan_stateIiLb0ELb1EEEEEvT2_T3_mT5_T4_T7_jPT6_SK_bb,"axG",@progbits,_ZN7rocprim17ROCPRIM_304000_NS6detail20lookback_scan_kernelILNS1_25lookback_scan_determinismE0ELb0ENS1_19wrapped_scan_configINS0_14default_configEiEEPKiPiSt4plusIvEiiNS1_19lookback_scan_stateIiLb0ELb1EEEEEvT2_T3_mT5_T4_T7_jPT6_SK_bb,comdat
	.protected	_ZN7rocprim17ROCPRIM_304000_NS6detail20lookback_scan_kernelILNS1_25lookback_scan_determinismE0ELb0ENS1_19wrapped_scan_configINS0_14default_configEiEEPKiPiSt4plusIvEiiNS1_19lookback_scan_stateIiLb0ELb1EEEEEvT2_T3_mT5_T4_T7_jPT6_SK_bb ; -- Begin function _ZN7rocprim17ROCPRIM_304000_NS6detail20lookback_scan_kernelILNS1_25lookback_scan_determinismE0ELb0ENS1_19wrapped_scan_configINS0_14default_configEiEEPKiPiSt4plusIvEiiNS1_19lookback_scan_stateIiLb0ELb1EEEEEvT2_T3_mT5_T4_T7_jPT6_SK_bb
	.globl	_ZN7rocprim17ROCPRIM_304000_NS6detail20lookback_scan_kernelILNS1_25lookback_scan_determinismE0ELb0ENS1_19wrapped_scan_configINS0_14default_configEiEEPKiPiSt4plusIvEiiNS1_19lookback_scan_stateIiLb0ELb1EEEEEvT2_T3_mT5_T4_T7_jPT6_SK_bb
	.p2align	8
	.type	_ZN7rocprim17ROCPRIM_304000_NS6detail20lookback_scan_kernelILNS1_25lookback_scan_determinismE0ELb0ENS1_19wrapped_scan_configINS0_14default_configEiEEPKiPiSt4plusIvEiiNS1_19lookback_scan_stateIiLb0ELb1EEEEEvT2_T3_mT5_T4_T7_jPT6_SK_bb,@function
_ZN7rocprim17ROCPRIM_304000_NS6detail20lookback_scan_kernelILNS1_25lookback_scan_determinismE0ELb0ENS1_19wrapped_scan_configINS0_14default_configEiEEPKiPiSt4plusIvEiiNS1_19lookback_scan_stateIiLb0ELb1EEEEEvT2_T3_mT5_T4_T7_jPT6_SK_bb: ; @_ZN7rocprim17ROCPRIM_304000_NS6detail20lookback_scan_kernelILNS1_25lookback_scan_determinismE0ELb0ENS1_19wrapped_scan_configINS0_14default_configEiEEPKiPiSt4plusIvEiiNS1_19lookback_scan_stateIiLb0ELb1EEEEEvT2_T3_mT5_T4_T7_jPT6_SK_bb
; %bb.0:
	s_load_dword s3, s[4:5], 0x28
	s_load_dwordx4 s[16:19], s[4:5], 0x0
	s_load_dwordx2 s[0:1], s[4:5], 0x10
	s_mul_i32 s2, s6, 0x500
	v_lshlrev_b32_e32 v22, 2, v0
	s_waitcnt lgkmcnt(0)
	s_add_i32 s7, s3, -1
	s_mul_i32 s8, s7, 0x500
	s_sub_u32 s24, s0, s8
	s_subb_u32 s25, s1, 0
	s_mov_b32 s3, 0
	s_cmp_lg_u32 s6, s7
	s_cselect_b64 s[20:21], -1, 0
	s_lshl_b64 s[22:23], s[2:3], 2
	s_add_u32 s2, s16, s22
	s_addc_u32 s3, s17, s23
	s_mov_b64 s[0:1], -1
	s_and_b64 vcc, exec, s[20:21]
	s_cbranch_vccz .LBB3_2
; %bb.1:
	v_mov_b32_e32 v1, s3
	v_add_co_u32_e32 v2, vcc, s2, v22
	v_addc_co_u32_e32 v1, vcc, 0, v1, vcc
	v_add_co_u32_e32 v2, vcc, 0x1000, v2
	v_addc_co_u32_e32 v3, vcc, 0, v1, vcc
	global_load_dword v4, v22, s[2:3]
	global_load_dword v5, v22, s[2:3] offset:512
	global_load_dword v6, v22, s[2:3] offset:1024
	;; [unrolled: 1-line block ×7, first 2 shown]
	global_load_dword v1, v[2:3], off
	global_load_dword v12, v[2:3], off offset:512
	s_mov_b64 s[0:1], 0
	s_waitcnt vmcnt(8)
	ds_write2st64_b32 v22, v4, v5 offset1:2
	s_waitcnt vmcnt(6)
	ds_write2st64_b32 v22, v6, v7 offset0:4 offset1:6
	s_waitcnt vmcnt(4)
	ds_write2st64_b32 v22, v8, v9 offset0:8 offset1:10
	;; [unrolled: 2-line block ×4, first 2 shown]
	s_waitcnt lgkmcnt(0)
	s_barrier
.LBB3_2:
	s_andn2_b64 vcc, exec, s[0:1]
	v_cmp_gt_u32_e64 s[0:1], s24, v0
	s_cbranch_vccnz .LBB3_24
; %bb.3:
	s_load_dword s8, s[2:3], 0x0
	v_mov_b32_e32 v1, s3
	v_add_co_u32_e32 v12, vcc, s2, v22
	v_addc_co_u32_e32 v13, vcc, 0, v1, vcc
	s_waitcnt lgkmcnt(0)
	s_mov_b32 s9, s8
	s_mov_b32 s10, s8
	;; [unrolled: 1-line block ×9, first 2 shown]
	v_pk_mov_b32 v[2:3], s[8:9], s[8:9] op_sel:[0,1]
	v_pk_mov_b32 v[4:5], s[10:11], s[10:11] op_sel:[0,1]
	;; [unrolled: 1-line block ×5, first 2 shown]
	v_mov_b32_e32 v1, s8
	s_and_saveexec_b64 s[2:3], s[0:1]
	s_cbranch_execz .LBB3_5
; %bb.4:
	global_load_dword v1, v[12:13], off
	v_pk_mov_b32 v[2:3], s[8:9], s[8:9] op_sel:[0,1]
	v_pk_mov_b32 v[4:5], s[10:11], s[10:11] op_sel:[0,1]
	;; [unrolled: 1-line block ×5, first 2 shown]
                                        ; kill: def $vgpr2 killed $vgpr1 killed $exec
.LBB3_5:
	s_or_b64 exec, exec, s[2:3]
	v_or_b32_e32 v2, 0x80, v0
	v_cmp_gt_u32_e32 vcc, s24, v2
	s_and_saveexec_b64 s[0:1], vcc
	s_cbranch_execz .LBB3_7
; %bb.6:
	global_load_dword v3, v[12:13], off offset:512
.LBB3_7:
	s_or_b64 exec, exec, s[0:1]
	v_or_b32_e32 v2, 0x100, v0
	v_cmp_gt_u32_e32 vcc, s24, v2
	s_and_saveexec_b64 s[0:1], vcc
	s_cbranch_execz .LBB3_9
; %bb.8:
	global_load_dword v4, v[12:13], off offset:1024
.LBB3_9:
	;; [unrolled: 8-line block ×7, first 2 shown]
	s_or_b64 exec, exec, s[0:1]
	v_or_b32_e32 v2, 0x400, v0
	v_cmp_gt_u32_e32 vcc, s24, v2
	s_and_saveexec_b64 s[0:1], vcc
	s_cbranch_execz .LBB3_21
; %bb.20:
	v_add_co_u32_e32 v14, vcc, 0x1000, v12
	v_addc_co_u32_e32 v15, vcc, 0, v13, vcc
	global_load_dword v10, v[14:15], off
.LBB3_21:
	s_or_b64 exec, exec, s[0:1]
	v_or_b32_e32 v2, 0x480, v0
	v_cmp_gt_u32_e32 vcc, s24, v2
	s_and_saveexec_b64 s[0:1], vcc
	s_cbranch_execz .LBB3_23
; %bb.22:
	v_add_co_u32_e32 v12, vcc, 0x1000, v12
	v_addc_co_u32_e32 v13, vcc, 0, v13, vcc
	global_load_dword v11, v[12:13], off offset:512
.LBB3_23:
	s_or_b64 exec, exec, s[0:1]
	s_waitcnt vmcnt(0)
	ds_write2st64_b32 v22, v1, v3 offset1:2
	ds_write2st64_b32 v22, v4, v5 offset0:4 offset1:6
	ds_write2st64_b32 v22, v6, v7 offset0:8 offset1:10
	;; [unrolled: 1-line block ×4, first 2 shown]
	s_waitcnt lgkmcnt(0)
	s_barrier
.LBB3_24:
	v_mul_u32_u24_e32 v23, 10, v0
	v_lshlrev_b32_e32 v1, 2, v23
	ds_read2_b64 v[16:19], v1 offset1:1
	ds_read2_b64 v[12:15], v1 offset0:2 offset1:3
	ds_read_b64 v[20:21], v1 offset:32
	s_load_dwordx2 s[12:13], s[4:5], 0x20
	s_cmp_lg_u32 s6, 0
	v_lshrrev_b32_e32 v24, 5, v0
	v_cmp_gt_u32_e32 vcc, 64, v0
	s_waitcnt lgkmcnt(0)
	s_barrier
	s_cbranch_scc0 .LBB3_49
; %bb.25:
	v_add_u32_e32 v2, v17, v16
	v_add3_u32 v2, v2, v18, v19
	v_add3_u32 v2, v2, v12, v13
	;; [unrolled: 1-line block ×4, first 2 shown]
	v_add_lshl_u32 v3, v24, v0, 2
	ds_write_b32 v3, v2
	s_waitcnt lgkmcnt(0)
	s_barrier
	s_and_saveexec_b64 s[2:3], vcc
	s_cbranch_execz .LBB3_27
; %bb.26:
	v_lshlrev_b32_e32 v3, 1, v0
	v_lshrrev_b32_e32 v4, 4, v0
	v_add_lshl_u32 v3, v4, v3, 2
	ds_read2_b32 v[4:5], v3 offset1:1
	v_mbcnt_lo_u32_b32 v6, -1, 0
	v_mbcnt_hi_u32_b32 v6, -1, v6
	v_and_b32_e32 v7, 15, v6
	v_cmp_ne_u32_e64 s[0:1], 0, v7
	s_waitcnt lgkmcnt(0)
	v_add_u32_e32 v8, v5, v4
	s_nop 1
	v_mov_b32_dpp v9, v8 row_shr:1 row_mask:0xf bank_mask:0xf
	v_cndmask_b32_e64 v9, 0, v9, s[0:1]
	v_add_u32_e32 v8, v9, v8
	v_cmp_lt_u32_e64 s[0:1], 1, v7
	s_nop 0
	v_mov_b32_dpp v9, v8 row_shr:2 row_mask:0xf bank_mask:0xf
	v_cndmask_b32_e64 v9, 0, v9, s[0:1]
	v_add_u32_e32 v8, v8, v9
	v_cmp_lt_u32_e64 s[0:1], 3, v7
	;; [unrolled: 5-line block ×3, first 2 shown]
	s_nop 0
	v_mov_b32_dpp v9, v8 row_shr:8 row_mask:0xf bank_mask:0xf
	v_cndmask_b32_e64 v7, 0, v9, s[0:1]
	v_add_u32_e32 v7, v8, v7
	v_bfe_i32 v9, v6, 4, 1
	v_cmp_lt_u32_e64 s[0:1], 31, v6
	v_mov_b32_dpp v8, v7 row_bcast:15 row_mask:0xf bank_mask:0xf
	v_and_b32_e32 v8, v9, v8
	v_add_u32_e32 v7, v7, v8
	v_and_b32_e32 v9, 64, v6
	s_nop 0
	v_mov_b32_dpp v8, v7 row_bcast:31 row_mask:0xf bank_mask:0xf
	v_cndmask_b32_e64 v8, 0, v8, s[0:1]
	v_add_u32_e32 v7, v7, v8
	v_add_u32_e32 v8, -1, v6
	v_cmp_lt_i32_e64 s[0:1], v8, v9
	v_cndmask_b32_e64 v6, v8, v6, s[0:1]
	v_lshlrev_b32_e32 v6, 2, v6
	ds_bpermute_b32 v6, v6, v7
	v_cmp_eq_u32_e64 s[0:1], 0, v0
	s_waitcnt lgkmcnt(0)
	v_add_u32_e32 v4, v6, v4
	v_cndmask_b32_e64 v2, v4, v2, s[0:1]
	v_add_u32_e32 v4, v2, v5
	ds_write2_b32 v3, v2, v4 offset1:1
.LBB3_27:
	s_or_b64 exec, exec, s[2:3]
	v_cmp_eq_u32_e64 s[0:1], 0, v0
	v_cmp_ne_u32_e64 s[2:3], 0, v0
	v_mov_b32_e32 v25, 0
	s_waitcnt lgkmcnt(0)
	s_barrier
	s_and_saveexec_b64 s[8:9], s[2:3]
	s_cbranch_execz .LBB3_29
; %bb.28:
	v_add_u32_e32 v2, -1, v0
	v_lshrrev_b32_e32 v3, 5, v2
	v_add_lshl_u32 v2, v3, v2, 2
	ds_read_b32 v25, v2
.LBB3_29:
	s_or_b64 exec, exec, s[8:9]
	s_and_saveexec_b64 s[8:9], vcc
	s_cbranch_execz .LBB3_48
; %bb.30:
	v_mov_b32_e32 v9, 0
	ds_read_b32 v2, v9 offset:520
	v_mbcnt_lo_u32_b32 v3, -1, 0
	v_mbcnt_hi_u32_b32 v5, -1, v3
	s_mov_b32 s15, 0
	v_cmp_eq_u32_e64 s[2:3], 0, v5
	s_and_saveexec_b64 s[10:11], s[2:3]
	s_cbranch_execz .LBB3_32
; %bb.31:
	s_add_i32 s14, s6, 64
	s_lshl_b64 s[14:15], s[14:15], 3
	s_add_u32 s14, s12, s14
	s_addc_u32 s15, s13, s15
	v_mov_b32_e32 v3, 1
	s_waitcnt lgkmcnt(0)
	global_store_dwordx2 v9, v[2:3], s[14:15]
.LBB3_32:
	s_or_b64 exec, exec, s[10:11]
	v_xad_u32 v4, v5, -1, s6
	v_add_u32_e32 v8, 64, v4
	v_lshlrev_b64 v[6:7], 3, v[8:9]
	v_mov_b32_e32 v3, s13
	v_add_co_u32_e32 v10, vcc, s12, v6
	v_addc_co_u32_e32 v11, vcc, v3, v7, vcc
	global_load_dwordx2 v[6:7], v[10:11], off glc
	s_waitcnt vmcnt(0)
	v_cmp_eq_u16_sdwa s[14:15], v7, v9 src0_sel:BYTE_0 src1_sel:DWORD
	s_and_saveexec_b64 s[10:11], s[14:15]
	s_cbranch_execz .LBB3_36
; %bb.33:
	s_mov_b64 s[14:15], 0
	v_mov_b32_e32 v3, 0
.LBB3_34:                               ; =>This Inner Loop Header: Depth=1
	global_load_dwordx2 v[6:7], v[10:11], off glc
	s_waitcnt vmcnt(0)
	v_cmp_ne_u16_sdwa s[16:17], v7, v3 src0_sel:BYTE_0 src1_sel:DWORD
	s_or_b64 s[14:15], s[16:17], s[14:15]
	s_andn2_b64 exec, exec, s[14:15]
	s_cbranch_execnz .LBB3_34
; %bb.35:
	s_or_b64 exec, exec, s[14:15]
.LBB3_36:
	s_or_b64 exec, exec, s[10:11]
	v_and_b32_e32 v34, 63, v5
	v_mov_b32_e32 v3, 2
	v_cmp_ne_u32_e32 vcc, 63, v34
	v_cmp_eq_u16_sdwa s[10:11], v7, v3 src0_sel:BYTE_0 src1_sel:DWORD
	v_lshlrev_b64 v[8:9], v5, -1
	v_addc_co_u32_e32 v26, vcc, 0, v5, vcc
	v_and_b32_e32 v10, s11, v9
	v_lshlrev_b32_e32 v26, 2, v26
	v_or_b32_e32 v10, 0x80000000, v10
	ds_bpermute_b32 v28, v26, v6
	v_and_b32_e32 v11, s10, v8
	v_ffbl_b32_e32 v10, v10
	v_add_u32_e32 v10, 32, v10
	v_ffbl_b32_e32 v11, v11
	v_min_u32_e32 v10, v11, v10
	v_add_u32_e32 v27, 1, v5
	v_cmp_le_u32_e32 vcc, v27, v10
	s_waitcnt lgkmcnt(0)
	v_cndmask_b32_e32 v11, 0, v28, vcc
	v_cmp_gt_u32_e32 vcc, 62, v34
	v_add_u32_e32 v6, v11, v6
	v_cndmask_b32_e64 v11, 0, 1, vcc
	v_lshlrev_b32_e32 v11, 1, v11
	v_add_lshl_u32 v28, v11, v5, 2
	ds_bpermute_b32 v11, v28, v6
	v_add_u32_e32 v29, 2, v5
	v_cmp_le_u32_e32 vcc, v29, v10
	v_add_u32_e32 v31, 4, v5
	v_add_u32_e32 v33, 8, v5
	s_waitcnt lgkmcnt(0)
	v_cndmask_b32_e32 v11, 0, v11, vcc
	v_cmp_gt_u32_e32 vcc, 60, v34
	v_add_u32_e32 v6, v6, v11
	v_cndmask_b32_e64 v11, 0, 1, vcc
	v_lshlrev_b32_e32 v11, 2, v11
	v_add_lshl_u32 v30, v11, v5, 2
	ds_bpermute_b32 v11, v30, v6
	v_cmp_le_u32_e32 vcc, v31, v10
	v_add_u32_e32 v36, 16, v5
	v_add_u32_e32 v38, 32, v5
	s_waitcnt lgkmcnt(0)
	v_cndmask_b32_e32 v11, 0, v11, vcc
	v_cmp_gt_u32_e32 vcc, 56, v34
	v_add_u32_e32 v6, v6, v11
	v_cndmask_b32_e64 v11, 0, 1, vcc
	v_lshlrev_b32_e32 v11, 3, v11
	v_add_lshl_u32 v32, v11, v5, 2
	ds_bpermute_b32 v11, v32, v6
	v_cmp_le_u32_e32 vcc, v33, v10
	s_waitcnt lgkmcnt(0)
	v_cndmask_b32_e32 v11, 0, v11, vcc
	v_cmp_gt_u32_e32 vcc, 48, v34
	v_add_u32_e32 v6, v6, v11
	v_cndmask_b32_e64 v11, 0, 1, vcc
	v_lshlrev_b32_e32 v11, 4, v11
	v_add_lshl_u32 v35, v11, v5, 2
	ds_bpermute_b32 v11, v35, v6
	v_cmp_le_u32_e32 vcc, v36, v10
	;; [unrolled: 9-line block ×3, first 2 shown]
	s_waitcnt lgkmcnt(0)
	v_cndmask_b32_e32 v5, 0, v11, vcc
	v_add_u32_e32 v6, v6, v5
	v_mov_b32_e32 v5, 0
	s_branch .LBB3_38
.LBB3_37:                               ;   in Loop: Header=BB3_38 Depth=1
	s_or_b64 exec, exec, s[10:11]
	v_cmp_eq_u16_sdwa s[10:11], v7, v3 src0_sel:BYTE_0 src1_sel:DWORD
	v_and_b32_e32 v10, s11, v9
	v_or_b32_e32 v10, 0x80000000, v10
	ds_bpermute_b32 v39, v26, v6
	v_and_b32_e32 v11, s10, v8
	v_ffbl_b32_e32 v10, v10
	v_add_u32_e32 v10, 32, v10
	v_ffbl_b32_e32 v11, v11
	v_min_u32_e32 v10, v11, v10
	v_cmp_le_u32_e32 vcc, v27, v10
	s_waitcnt lgkmcnt(0)
	v_cndmask_b32_e32 v11, 0, v39, vcc
	v_add_u32_e32 v6, v11, v6
	ds_bpermute_b32 v11, v28, v6
	v_cmp_le_u32_e32 vcc, v29, v10
	v_subrev_u32_e32 v4, 64, v4
	s_waitcnt lgkmcnt(0)
	v_cndmask_b32_e32 v11, 0, v11, vcc
	v_add_u32_e32 v6, v6, v11
	ds_bpermute_b32 v11, v30, v6
	v_cmp_le_u32_e32 vcc, v31, v10
	s_waitcnt lgkmcnt(0)
	v_cndmask_b32_e32 v11, 0, v11, vcc
	v_add_u32_e32 v6, v6, v11
	ds_bpermute_b32 v11, v32, v6
	v_cmp_le_u32_e32 vcc, v33, v10
	;; [unrolled: 5-line block ×4, first 2 shown]
	s_waitcnt lgkmcnt(0)
	v_cndmask_b32_e32 v10, 0, v11, vcc
	v_add3_u32 v6, v10, v34, v6
.LBB3_38:                               ; =>This Loop Header: Depth=1
                                        ;     Child Loop BB3_41 Depth 2
	v_cmp_ne_u16_sdwa s[10:11], v7, v3 src0_sel:BYTE_0 src1_sel:DWORD
	v_cndmask_b32_e64 v7, 0, 1, s[10:11]
	;;#ASMSTART
	;;#ASMEND
	v_cmp_ne_u32_e32 vcc, 0, v7
	s_cmp_lg_u64 vcc, exec
	v_mov_b32_e32 v34, v6
	s_cbranch_scc1 .LBB3_43
; %bb.39:                               ;   in Loop: Header=BB3_38 Depth=1
	v_lshlrev_b64 v[6:7], 3, v[4:5]
	v_mov_b32_e32 v11, s13
	v_add_co_u32_e32 v10, vcc, s12, v6
	v_addc_co_u32_e32 v11, vcc, v11, v7, vcc
	global_load_dwordx2 v[6:7], v[10:11], off glc
	s_waitcnt vmcnt(0)
	v_cmp_eq_u16_sdwa s[14:15], v7, v5 src0_sel:BYTE_0 src1_sel:DWORD
	s_and_saveexec_b64 s[10:11], s[14:15]
	s_cbranch_execz .LBB3_37
; %bb.40:                               ;   in Loop: Header=BB3_38 Depth=1
	s_mov_b64 s[14:15], 0
.LBB3_41:                               ;   Parent Loop BB3_38 Depth=1
                                        ; =>  This Inner Loop Header: Depth=2
	global_load_dwordx2 v[6:7], v[10:11], off glc
	s_waitcnt vmcnt(0)
	v_cmp_ne_u16_sdwa s[16:17], v7, v5 src0_sel:BYTE_0 src1_sel:DWORD
	s_or_b64 s[14:15], s[16:17], s[14:15]
	s_andn2_b64 exec, exec, s[14:15]
	s_cbranch_execnz .LBB3_41
; %bb.42:                               ;   in Loop: Header=BB3_38 Depth=1
	s_or_b64 exec, exec, s[14:15]
	s_branch .LBB3_37
.LBB3_43:                               ;   in Loop: Header=BB3_38 Depth=1
                                        ; implicit-def: $vgpr6
                                        ; implicit-def: $vgpr7
	s_cbranch_execz .LBB3_38
; %bb.44:
	s_and_saveexec_b64 s[10:11], s[2:3]
	s_cbranch_execz .LBB3_46
; %bb.45:
	s_add_i32 s2, s6, 64
	s_mov_b32 s3, 0
	s_lshl_b64 s[2:3], s[2:3], 3
	s_add_u32 s2, s12, s2
	s_addc_u32 s3, s13, s3
	v_mov_b32_e32 v4, 0
	v_add_u32_e32 v2, v34, v2
	v_mov_b32_e32 v3, 2
	global_store_dwordx2 v4, v[2:3], s[2:3]
.LBB3_46:
	s_or_b64 exec, exec, s[10:11]
	s_and_b64 exec, exec, s[0:1]
	s_cbranch_execz .LBB3_48
; %bb.47:
	v_mov_b32_e32 v2, 0
	ds_write_b32 v2, v34
.LBB3_48:
	s_or_b64 exec, exec, s[8:9]
	v_mov_b32_e32 v2, 0
	s_waitcnt lgkmcnt(0)
	s_barrier
	ds_read_b32 v2, v2
	s_waitcnt lgkmcnt(0)
	v_add3_u32 v2, v25, v16, v2
	v_add_u32_e32 v3, v2, v17
	v_add_u32_e32 v4, v3, v18
	;; [unrolled: 1-line block ×9, first 2 shown]
	s_load_dwordx4 s[8:11], s[4:5], 0x30
	s_branch .LBB3_59
.LBB3_49:
                                        ; implicit-def: $vgpr2_vgpr3_vgpr4_vgpr5_vgpr6_vgpr7_vgpr8_vgpr9_vgpr10_vgpr11
	s_load_dwordx4 s[8:11], s[4:5], 0x30
	s_cbranch_execz .LBB3_59
; %bb.50:
	s_load_dword s2, s[4:5], 0x40
	v_cmp_eq_u32_e32 vcc, 0, v0
	v_cmp_ne_u32_e64 s[0:1], 0, v0
	s_waitcnt lgkmcnt(0)
	s_bitcmp1_b32 s2, 0
	s_cselect_b64 s[2:3], -1, 0
	s_and_b64 s[6:7], vcc, s[2:3]
	s_and_saveexec_b64 s[2:3], s[6:7]
	s_cbranch_execz .LBB3_52
; %bb.51:
	s_load_dword s6, s[8:9], 0x0
	s_waitcnt lgkmcnt(0)
	v_add_u32_e32 v16, s6, v16
.LBB3_52:
	s_or_b64 exec, exec, s[2:3]
	v_add_u32_e32 v2, v17, v16
	v_add3_u32 v2, v2, v18, v19
	v_add3_u32 v2, v2, v12, v13
	;; [unrolled: 1-line block ×4, first 2 shown]
	v_add_lshl_u32 v3, v24, v0, 2
	v_cmp_gt_u32_e64 s[2:3], 64, v0
	ds_write_b32 v3, v2
	s_waitcnt lgkmcnt(0)
	s_barrier
	s_and_saveexec_b64 s[6:7], s[2:3]
	s_cbranch_execz .LBB3_54
; %bb.53:
	v_lshlrev_b32_e32 v3, 1, v0
	v_lshrrev_b32_e32 v4, 4, v0
	v_add_lshl_u32 v3, v4, v3, 2
	ds_read2_b32 v[4:5], v3 offset1:1
	v_mbcnt_lo_u32_b32 v6, -1, 0
	v_mbcnt_hi_u32_b32 v6, -1, v6
	v_and_b32_e32 v7, 15, v6
	v_cmp_ne_u32_e64 s[2:3], 0, v7
	s_waitcnt lgkmcnt(0)
	v_add_u32_e32 v8, v5, v4
	s_nop 1
	v_mov_b32_dpp v9, v8 row_shr:1 row_mask:0xf bank_mask:0xf
	v_cndmask_b32_e64 v9, 0, v9, s[2:3]
	v_add_u32_e32 v8, v9, v8
	v_cmp_lt_u32_e64 s[2:3], 1, v7
	s_nop 0
	v_mov_b32_dpp v9, v8 row_shr:2 row_mask:0xf bank_mask:0xf
	v_cndmask_b32_e64 v9, 0, v9, s[2:3]
	v_add_u32_e32 v8, v8, v9
	v_cmp_lt_u32_e64 s[2:3], 3, v7
	;; [unrolled: 5-line block ×3, first 2 shown]
	s_nop 0
	v_mov_b32_dpp v9, v8 row_shr:8 row_mask:0xf bank_mask:0xf
	v_cndmask_b32_e64 v7, 0, v9, s[2:3]
	v_add_u32_e32 v7, v8, v7
	v_bfe_i32 v9, v6, 4, 1
	v_cmp_lt_u32_e64 s[2:3], 31, v6
	v_mov_b32_dpp v8, v7 row_bcast:15 row_mask:0xf bank_mask:0xf
	v_and_b32_e32 v8, v9, v8
	v_add_u32_e32 v7, v7, v8
	v_and_b32_e32 v9, 64, v6
	s_nop 0
	v_mov_b32_dpp v8, v7 row_bcast:31 row_mask:0xf bank_mask:0xf
	v_cndmask_b32_e64 v8, 0, v8, s[2:3]
	v_add_u32_e32 v7, v7, v8
	v_add_u32_e32 v8, -1, v6
	v_cmp_lt_i32_e64 s[2:3], v8, v9
	v_cndmask_b32_e64 v6, v8, v6, s[2:3]
	v_lshlrev_b32_e32 v6, 2, v6
	ds_bpermute_b32 v6, v6, v7
	s_waitcnt lgkmcnt(0)
	v_add_u32_e32 v4, v6, v4
	v_cndmask_b32_e32 v2, v4, v2, vcc
	v_add_u32_e32 v4, v2, v5
	ds_write2_b32 v3, v2, v4 offset1:1
.LBB3_54:
	s_or_b64 exec, exec, s[6:7]
	v_mov_b32_e32 v2, 0
	s_waitcnt lgkmcnt(0)
	s_barrier
	s_and_saveexec_b64 s[2:3], s[0:1]
	s_cbranch_execz .LBB3_56
; %bb.55:
	v_add_u32_e32 v2, -1, v0
	v_lshrrev_b32_e32 v3, 5, v2
	v_add_lshl_u32 v2, v3, v2, 2
	ds_read_b32 v2, v2
.LBB3_56:
	s_or_b64 exec, exec, s[2:3]
	s_waitcnt lgkmcnt(0)
	v_add_u32_e32 v2, v2, v16
	v_add_u32_e32 v3, v2, v17
	;; [unrolled: 1-line block ×10, first 2 shown]
	s_and_saveexec_b64 s[0:1], vcc
	s_cbranch_execz .LBB3_58
; %bb.57:
	v_mov_b32_e32 v14, 0
	ds_read_b32 v12, v14 offset:520
	v_mov_b32_e32 v13, 2
	s_waitcnt lgkmcnt(0)
	global_store_dwordx2 v14, v[12:13], s[12:13] offset:512
.LBB3_58:
	s_or_b64 exec, exec, s[0:1]
.LBB3_59:
	s_add_u32 s0, s18, s22
	s_addc_u32 s1, s19, s23
	s_mov_b64 s[2:3], -1
	s_and_b64 vcc, exec, s[20:21]
	s_waitcnt lgkmcnt(0)
	s_barrier
	s_cbranch_vccz .LBB3_61
; %bb.60:
	ds_write2_b64 v1, v[2:3], v[4:5] offset1:1
	ds_write2_b64 v1, v[6:7], v[8:9] offset0:2 offset1:3
	ds_write_b64 v1, v[10:11] offset:32
	s_waitcnt lgkmcnt(0)
	s_barrier
	ds_read2st64_b32 v[12:13], v22 offset1:2
	ds_read2st64_b32 v[14:15], v22 offset0:4 offset1:6
	ds_read2st64_b32 v[16:17], v22 offset0:8 offset1:10
	;; [unrolled: 1-line block ×4, first 2 shown]
	v_mov_b32_e32 v24, s1
	v_add_co_u32_e32 v25, vcc, s0, v22
	v_addc_co_u32_e32 v24, vcc, 0, v24, vcc
	s_waitcnt lgkmcnt(4)
	global_store_dword v22, v12, s[0:1]
	global_store_dword v22, v13, s[0:1] offset:512
	s_waitcnt lgkmcnt(3)
	global_store_dword v22, v14, s[0:1] offset:1024
	global_store_dword v22, v15, s[0:1] offset:1536
	s_waitcnt lgkmcnt(2)
	global_store_dword v22, v16, s[0:1] offset:2048
	;; [unrolled: 3-line block ×3, first 2 shown]
	global_store_dword v22, v19, s[0:1] offset:3584
	v_add_co_u32_e32 v12, vcc, 0x1000, v25
	v_addc_co_u32_e32 v13, vcc, 0, v24, vcc
	s_waitcnt lgkmcnt(0)
	global_store_dword v[12:13], v20, off
	global_store_dword v[12:13], v21, off offset:512
	s_mov_b64 s[2:3], 0
.LBB3_61:
	s_andn2_b64 vcc, exec, s[2:3]
	s_cbranch_vccnz .LBB3_117
; %bb.62:
	ds_write2_b64 v1, v[2:3], v[4:5] offset1:1
	ds_write2_b64 v1, v[6:7], v[8:9] offset0:2 offset1:3
	ds_write_b64 v1, v[10:11] offset:32
	s_waitcnt lgkmcnt(0)
	s_barrier
	ds_read2st64_b32 v[2:3], v22 offset1:2
	ds_read2st64_b32 v[6:7], v22 offset0:4 offset1:6
	ds_read2st64_b32 v[4:5], v22 offset0:8 offset1:10
	;; [unrolled: 1-line block ×4, first 2 shown]
	v_mov_b32_e32 v13, s1
	v_add_co_u32_e32 v12, vcc, s0, v22
	v_addc_co_u32_e32 v13, vcc, 0, v13, vcc
	v_mov_b32_e32 v1, 0
	v_cmp_gt_u32_e32 vcc, s24, v0
	s_and_saveexec_b64 s[0:1], vcc
	s_cbranch_execz .LBB3_64
; %bb.63:
	s_waitcnt lgkmcnt(4)
	global_store_dword v[12:13], v2, off
.LBB3_64:
	s_or_b64 exec, exec, s[0:1]
	v_or_b32_e32 v14, 0x80, v0
	v_cmp_gt_u32_e32 vcc, s24, v14
	s_and_saveexec_b64 s[0:1], vcc
	s_cbranch_execz .LBB3_66
; %bb.65:
	s_waitcnt lgkmcnt(4)
	global_store_dword v[12:13], v3, off offset:512
.LBB3_66:
	s_or_b64 exec, exec, s[0:1]
	v_or_b32_e32 v14, 0x100, v0
	v_cmp_gt_u32_e32 vcc, s24, v14
	s_and_saveexec_b64 s[0:1], vcc
	s_cbranch_execz .LBB3_68
; %bb.67:
	s_waitcnt lgkmcnt(3)
	global_store_dword v[12:13], v6, off offset:1024
.LBB3_68:
	;; [unrolled: 9-line block ×7, first 2 shown]
	s_or_b64 exec, exec, s[0:1]
	v_or_b32_e32 v14, 0x400, v0
	v_cmp_gt_u32_e32 vcc, s24, v14
	s_and_saveexec_b64 s[0:1], vcc
	s_cbranch_execz .LBB3_80
; %bb.79:
	v_add_co_u32_e32 v14, vcc, 0x1000, v12
	v_addc_co_u32_e32 v15, vcc, 0, v13, vcc
	s_waitcnt lgkmcnt(0)
	global_store_dword v[14:15], v10, off
.LBB3_80:
	s_or_b64 exec, exec, s[0:1]
	v_or_b32_e32 v14, 0x480, v0
	v_cmp_gt_u32_e32 vcc, s24, v14
	s_and_saveexec_b64 s[0:1], vcc
	s_cbranch_execz .LBB3_82
; %bb.81:
	v_add_co_u32_e32 v12, vcc, 0x1000, v12
	v_addc_co_u32_e32 v13, vcc, 0, v13, vcc
	s_waitcnt lgkmcnt(0)
	global_store_dword v[12:13], v11, off offset:512
.LBB3_82:
	s_or_b64 exec, exec, s[0:1]
	s_load_dword s0, s[4:5], 0x40
	s_waitcnt lgkmcnt(0)
	s_bfe_u32 s0, s0, 0x10008
	s_cmp_eq_u32 s0, 0
	s_cbranch_scc1 .LBB3_117
; %bb.83:
	s_add_u32 s0, s24, -1
	s_addc_u32 s1, s25, -1
	s_add_u32 s2, 0, 0x99986000
	s_addc_u32 s3, 0, 0x59
	s_add_i32 s3, s3, 0x19999940
	s_mul_hi_u32 s7, s2, -10
	s_sub_i32 s7, s7, s2
	s_mul_i32 s8, s3, -10
	s_mul_i32 s4, s2, -10
	s_add_i32 s7, s7, s8
	s_mul_hi_u32 s5, s3, s4
	s_mul_i32 s6, s3, s4
	s_mul_i32 s9, s2, s7
	s_mul_hi_u32 s4, s2, s4
	s_mul_hi_u32 s8, s2, s7
	s_add_u32 s4, s4, s9
	s_addc_u32 s8, 0, s8
	s_add_u32 s4, s4, s6
	s_mul_hi_u32 s9, s3, s7
	s_addc_u32 s4, s8, s5
	s_addc_u32 s5, s9, 0
	s_mul_i32 s6, s3, s7
	s_add_u32 s4, s4, s6
	v_mov_b32_e32 v12, s4
	s_addc_u32 s5, 0, s5
	v_add_co_u32_e32 v12, vcc, s2, v12
	s_cmp_lg_u64 vcc, 0
	s_addc_u32 s2, s3, s5
	v_readfirstlane_b32 s5, v12
	s_mul_i32 s4, s0, s2
	s_mul_hi_u32 s6, s0, s5
	s_mul_hi_u32 s3, s0, s2
	s_add_u32 s4, s6, s4
	s_addc_u32 s3, 0, s3
	s_mul_hi_u32 s7, s1, s5
	s_mul_i32 s5, s1, s5
	s_add_u32 s4, s4, s5
	s_mul_hi_u32 s6, s1, s2
	s_addc_u32 s3, s3, s7
	s_addc_u32 s4, s6, 0
	s_mul_i32 s2, s1, s2
	s_add_u32 s2, s3, s2
	s_addc_u32 s3, 0, s4
	s_add_u32 s4, s2, 1
	s_addc_u32 s5, s3, 0
	s_add_u32 s6, s2, 2
	s_mul_i32 s8, s3, 10
	s_mul_hi_u32 s9, s2, 10
	s_addc_u32 s7, s3, 0
	s_add_i32 s9, s9, s8
	s_mul_i32 s8, s2, 10
	v_mov_b32_e32 v12, s8
	v_sub_co_u32_e32 v12, vcc, s0, v12
	s_cmp_lg_u64 vcc, 0
	s_subb_u32 s8, s1, s9
	v_subrev_co_u32_e32 v13, vcc, 10, v12
	s_cmp_lg_u64 vcc, 0
	s_subb_u32 s9, s8, 0
	v_readfirstlane_b32 s12, v13
	s_cmp_gt_u32 s12, 9
	s_cselect_b32 s12, -1, 0
	s_cmp_eq_u32 s9, 0
	s_cselect_b32 s9, s12, -1
	s_cmp_lg_u32 s9, 0
	s_cselect_b32 s4, s6, s4
	v_readfirstlane_b32 s6, v12
	s_cselect_b32 s5, s7, s5
	s_cmp_gt_u32 s6, 9
	s_cselect_b32 s6, -1, 0
	s_cmp_eq_u32 s8, 0
	s_cselect_b32 s6, s6, -1
	s_cmp_lg_u32 s6, 0
	s_cselect_b32 s3, s5, s3
	s_cselect_b32 s2, s4, s2
	v_cmp_eq_u64_e32 vcc, s[2:3], v[0:1]
	s_and_saveexec_b64 s[2:3], vcc
	s_cbranch_execz .LBB3_117
; %bb.84:
	v_mul_hi_u32_u24_e32 v1, 10, v0
	v_mov_b32_e32 v12, s1
	v_sub_co_u32_e32 v0, vcc, s0, v23
	v_subb_co_u32_e32 v1, vcc, v12, v1, vcc
	v_cmp_lt_i64_e32 vcc, 4, v[0:1]
	s_and_saveexec_b64 s[0:1], vcc
	s_xor_b64 s[0:1], exec, s[0:1]
	s_cbranch_execz .LBB3_102
; %bb.85:
	v_cmp_lt_i64_e32 vcc, 6, v[0:1]
	s_and_saveexec_b64 s[2:3], vcc
	s_xor_b64 s[2:3], exec, s[2:3]
	s_cbranch_execz .LBB3_95
; %bb.86:
	;; [unrolled: 5-line block ×4, first 2 shown]
	v_mov_b32_e32 v0, 0
	global_store_dword v0, v11, s[10:11]
                                        ; implicit-def: $vgpr10_vgpr11
.LBB3_89:
	s_andn2_saveexec_b64 s[6:7], s[6:7]
	s_cbranch_execz .LBB3_91
; %bb.90:
	v_mov_b32_e32 v0, 0
	global_store_dword v0, v10, s[10:11]
.LBB3_91:
	s_or_b64 exec, exec, s[6:7]
                                        ; implicit-def: $vgpr8_vgpr9
.LBB3_92:
	s_andn2_saveexec_b64 s[4:5], s[4:5]
	s_cbranch_execz .LBB3_94
; %bb.93:
	v_mov_b32_e32 v0, 0
	global_store_dword v0, v9, s[10:11]
.LBB3_94:
	s_or_b64 exec, exec, s[4:5]
                                        ; implicit-def: $vgpr4_vgpr5
                                        ; implicit-def: $vgpr0_vgpr1
                                        ; implicit-def: $vgpr8_vgpr9
.LBB3_95:
	s_andn2_saveexec_b64 s[2:3], s[2:3]
	s_cbranch_execz .LBB3_101
; %bb.96:
	v_cmp_lt_i64_e32 vcc, 5, v[0:1]
	s_and_saveexec_b64 s[4:5], vcc
	s_xor_b64 s[4:5], exec, s[4:5]
	s_cbranch_execz .LBB3_98
; %bb.97:
	v_mov_b32_e32 v0, 0
	global_store_dword v0, v8, s[10:11]
                                        ; implicit-def: $vgpr4_vgpr5
.LBB3_98:
	s_andn2_saveexec_b64 s[4:5], s[4:5]
	s_cbranch_execz .LBB3_100
; %bb.99:
	v_mov_b32_e32 v0, 0
	global_store_dword v0, v5, s[10:11]
.LBB3_100:
	s_or_b64 exec, exec, s[4:5]
.LBB3_101:
	s_or_b64 exec, exec, s[2:3]
                                        ; implicit-def: $vgpr0_vgpr1
                                        ; implicit-def: $vgpr6_vgpr7
                                        ; implicit-def: $vgpr2_vgpr3
                                        ; implicit-def: $vgpr4_vgpr5
.LBB3_102:
	s_andn2_saveexec_b64 s[0:1], s[0:1]
	s_cbranch_execz .LBB3_117
; %bb.103:
	v_cmp_lt_i64_e32 vcc, 2, v[0:1]
	s_and_saveexec_b64 s[0:1], vcc
	s_xor_b64 s[0:1], exec, s[0:1]
	s_cbranch_execz .LBB3_109
; %bb.104:
	v_cmp_lt_i64_e32 vcc, 3, v[0:1]
	s_and_saveexec_b64 s[2:3], vcc
	s_xor_b64 s[2:3], exec, s[2:3]
	s_cbranch_execz .LBB3_106
; %bb.105:
	v_mov_b32_e32 v0, 0
	global_store_dword v0, v4, s[10:11]
                                        ; implicit-def: $vgpr6_vgpr7
.LBB3_106:
	s_andn2_saveexec_b64 s[2:3], s[2:3]
	s_cbranch_execz .LBB3_108
; %bb.107:
	v_mov_b32_e32 v0, 0
	global_store_dword v0, v7, s[10:11]
.LBB3_108:
	s_or_b64 exec, exec, s[2:3]
                                        ; implicit-def: $vgpr0_vgpr1
                                        ; implicit-def: $vgpr6_vgpr7
                                        ; implicit-def: $vgpr2_vgpr3
.LBB3_109:
	s_andn2_saveexec_b64 s[0:1], s[0:1]
	s_cbranch_execz .LBB3_117
; %bb.110:
	v_cmp_lt_i64_e32 vcc, 1, v[0:1]
	s_and_saveexec_b64 s[0:1], vcc
	s_xor_b64 s[0:1], exec, s[0:1]
	s_cbranch_execz .LBB3_112
; %bb.111:
	v_mov_b32_e32 v0, 0
	global_store_dword v0, v6, s[10:11]
                                        ; implicit-def: $vgpr2_vgpr3
                                        ; implicit-def: $vgpr0_vgpr1
.LBB3_112:
	s_andn2_saveexec_b64 s[0:1], s[0:1]
	s_cbranch_execz .LBB3_117
; %bb.113:
	v_cmp_ne_u64_e32 vcc, 1, v[0:1]
	s_and_saveexec_b64 s[0:1], vcc
	s_xor_b64 s[0:1], exec, s[0:1]
	s_cbranch_execz .LBB3_115
; %bb.114:
	v_mov_b32_e32 v0, 0
	global_store_dword v0, v2, s[10:11]
                                        ; implicit-def: $vgpr2_vgpr3
.LBB3_115:
	s_andn2_saveexec_b64 s[0:1], s[0:1]
	s_cbranch_execz .LBB3_117
; %bb.116:
	v_mov_b32_e32 v0, 0
	global_store_dword v0, v3, s[10:11]
.LBB3_117:
	s_endpgm
	.section	.rodata,"a",@progbits
	.p2align	6, 0x0
	.amdhsa_kernel _ZN7rocprim17ROCPRIM_304000_NS6detail20lookback_scan_kernelILNS1_25lookback_scan_determinismE0ELb0ENS1_19wrapped_scan_configINS0_14default_configEiEEPKiPiSt4plusIvEiiNS1_19lookback_scan_stateIiLb0ELb1EEEEEvT2_T3_mT5_T4_T7_jPT6_SK_bb
		.amdhsa_group_segment_fixed_size 5120
		.amdhsa_private_segment_fixed_size 0
		.amdhsa_kernarg_size 68
		.amdhsa_user_sgpr_count 6
		.amdhsa_user_sgpr_private_segment_buffer 1
		.amdhsa_user_sgpr_dispatch_ptr 0
		.amdhsa_user_sgpr_queue_ptr 0
		.amdhsa_user_sgpr_kernarg_segment_ptr 1
		.amdhsa_user_sgpr_dispatch_id 0
		.amdhsa_user_sgpr_flat_scratch_init 0
		.amdhsa_user_sgpr_kernarg_preload_length 0
		.amdhsa_user_sgpr_kernarg_preload_offset 0
		.amdhsa_user_sgpr_private_segment_size 0
		.amdhsa_uses_dynamic_stack 0
		.amdhsa_system_sgpr_private_segment_wavefront_offset 0
		.amdhsa_system_sgpr_workgroup_id_x 1
		.amdhsa_system_sgpr_workgroup_id_y 0
		.amdhsa_system_sgpr_workgroup_id_z 0
		.amdhsa_system_sgpr_workgroup_info 0
		.amdhsa_system_vgpr_workitem_id 0
		.amdhsa_next_free_vgpr 40
		.amdhsa_next_free_sgpr 26
		.amdhsa_accum_offset 40
		.amdhsa_reserve_vcc 1
		.amdhsa_reserve_flat_scratch 0
		.amdhsa_float_round_mode_32 0
		.amdhsa_float_round_mode_16_64 0
		.amdhsa_float_denorm_mode_32 3
		.amdhsa_float_denorm_mode_16_64 3
		.amdhsa_dx10_clamp 1
		.amdhsa_ieee_mode 1
		.amdhsa_fp16_overflow 0
		.amdhsa_tg_split 0
		.amdhsa_exception_fp_ieee_invalid_op 0
		.amdhsa_exception_fp_denorm_src 0
		.amdhsa_exception_fp_ieee_div_zero 0
		.amdhsa_exception_fp_ieee_overflow 0
		.amdhsa_exception_fp_ieee_underflow 0
		.amdhsa_exception_fp_ieee_inexact 0
		.amdhsa_exception_int_div_zero 0
	.end_amdhsa_kernel
	.section	.text._ZN7rocprim17ROCPRIM_304000_NS6detail20lookback_scan_kernelILNS1_25lookback_scan_determinismE0ELb0ENS1_19wrapped_scan_configINS0_14default_configEiEEPKiPiSt4plusIvEiiNS1_19lookback_scan_stateIiLb0ELb1EEEEEvT2_T3_mT5_T4_T7_jPT6_SK_bb,"axG",@progbits,_ZN7rocprim17ROCPRIM_304000_NS6detail20lookback_scan_kernelILNS1_25lookback_scan_determinismE0ELb0ENS1_19wrapped_scan_configINS0_14default_configEiEEPKiPiSt4plusIvEiiNS1_19lookback_scan_stateIiLb0ELb1EEEEEvT2_T3_mT5_T4_T7_jPT6_SK_bb,comdat
.Lfunc_end3:
	.size	_ZN7rocprim17ROCPRIM_304000_NS6detail20lookback_scan_kernelILNS1_25lookback_scan_determinismE0ELb0ENS1_19wrapped_scan_configINS0_14default_configEiEEPKiPiSt4plusIvEiiNS1_19lookback_scan_stateIiLb0ELb1EEEEEvT2_T3_mT5_T4_T7_jPT6_SK_bb, .Lfunc_end3-_ZN7rocprim17ROCPRIM_304000_NS6detail20lookback_scan_kernelILNS1_25lookback_scan_determinismE0ELb0ENS1_19wrapped_scan_configINS0_14default_configEiEEPKiPiSt4plusIvEiiNS1_19lookback_scan_stateIiLb0ELb1EEEEEvT2_T3_mT5_T4_T7_jPT6_SK_bb
                                        ; -- End function
	.section	.AMDGPU.csdata,"",@progbits
; Kernel info:
; codeLenInByte = 4376
; NumSgprs: 30
; NumVgprs: 40
; NumAgprs: 0
; TotalNumVgprs: 40
; ScratchSize: 0
; MemoryBound: 0
; FloatMode: 240
; IeeeMode: 1
; LDSByteSize: 5120 bytes/workgroup (compile time only)
; SGPRBlocks: 3
; VGPRBlocks: 4
; NumSGPRsForWavesPerEU: 30
; NumVGPRsForWavesPerEU: 40
; AccumOffset: 40
; Occupancy: 6
; WaveLimiterHint : 1
; COMPUTE_PGM_RSRC2:SCRATCH_EN: 0
; COMPUTE_PGM_RSRC2:USER_SGPR: 6
; COMPUTE_PGM_RSRC2:TRAP_HANDLER: 0
; COMPUTE_PGM_RSRC2:TGID_X_EN: 1
; COMPUTE_PGM_RSRC2:TGID_Y_EN: 0
; COMPUTE_PGM_RSRC2:TGID_Z_EN: 0
; COMPUTE_PGM_RSRC2:TIDIG_COMP_CNT: 0
; COMPUTE_PGM_RSRC3_GFX90A:ACCUM_OFFSET: 9
; COMPUTE_PGM_RSRC3_GFX90A:TG_SPLIT: 0
	.section	.text._ZN7rocprim17ROCPRIM_304000_NS6detail16transform_kernelINS1_24wrapped_transform_configINS0_14default_configEiEEiPiS6_NS0_8identityIiEEEEvT1_mT2_T3_,"axG",@progbits,_ZN7rocprim17ROCPRIM_304000_NS6detail16transform_kernelINS1_24wrapped_transform_configINS0_14default_configEiEEiPiS6_NS0_8identityIiEEEEvT1_mT2_T3_,comdat
	.protected	_ZN7rocprim17ROCPRIM_304000_NS6detail16transform_kernelINS1_24wrapped_transform_configINS0_14default_configEiEEiPiS6_NS0_8identityIiEEEEvT1_mT2_T3_ ; -- Begin function _ZN7rocprim17ROCPRIM_304000_NS6detail16transform_kernelINS1_24wrapped_transform_configINS0_14default_configEiEEiPiS6_NS0_8identityIiEEEEvT1_mT2_T3_
	.globl	_ZN7rocprim17ROCPRIM_304000_NS6detail16transform_kernelINS1_24wrapped_transform_configINS0_14default_configEiEEiPiS6_NS0_8identityIiEEEEvT1_mT2_T3_
	.p2align	8
	.type	_ZN7rocprim17ROCPRIM_304000_NS6detail16transform_kernelINS1_24wrapped_transform_configINS0_14default_configEiEEiPiS6_NS0_8identityIiEEEEvT1_mT2_T3_,@function
_ZN7rocprim17ROCPRIM_304000_NS6detail16transform_kernelINS1_24wrapped_transform_configINS0_14default_configEiEEiPiS6_NS0_8identityIiEEEEvT1_mT2_T3_: ; @_ZN7rocprim17ROCPRIM_304000_NS6detail16transform_kernelINS1_24wrapped_transform_configINS0_14default_configEiEEiPiS6_NS0_8identityIiEEEEvT1_mT2_T3_
; %bb.0:
	s_load_dword s7, s[4:5], 0x20
	s_load_dwordx4 s[0:3], s[4:5], 0x0
	s_load_dwordx2 s[8:9], s[4:5], 0x10
	s_lshl_b32 s10, s6, 11
	s_mov_b32 s11, 0
	s_waitcnt lgkmcnt(0)
	s_add_i32 s7, s7, -1
	s_lshl_b64 s[4:5], s[10:11], 2
	s_add_u32 s0, s0, s4
	s_addc_u32 s1, s1, s5
	v_lshlrev_b32_e32 v1, 2, v0
	v_mov_b32_e32 v2, s1
	v_add_co_u32_e32 v4, vcc, s0, v1
	s_cmp_lg_u32 s6, s7
	v_addc_co_u32_e32 v5, vcc, 0, v2, vcc
	s_cbranch_scc0 .LBB4_2
; %bb.1:
	v_add_co_u32_e32 v2, vcc, 0x1000, v4
	global_load_dword v6, v[4:5], off
	v_addc_co_u32_e32 v3, vcc, 0, v5, vcc
	global_load_dword v3, v[2:3], off
	s_add_u32 s0, s8, s4
	s_addc_u32 s1, s9, s5
	s_mov_b64 s[6:7], -1
	s_waitcnt vmcnt(1)
	global_store_dword v1, v6, s[0:1]
	s_cbranch_execz .LBB4_3
	s_branch .LBB4_10
.LBB4_2:
	s_mov_b64 s[6:7], 0
                                        ; implicit-def: $vgpr3
.LBB4_3:
	s_sub_i32 s10, s2, s10
	v_cmp_gt_u32_e64 s[0:1], s10, v0
                                        ; implicit-def: $vgpr2_vgpr3
	s_and_saveexec_b64 s[2:3], s[0:1]
	s_cbranch_execz .LBB4_5
; %bb.4:
	global_load_dword v2, v[4:5], off
.LBB4_5:
	s_or_b64 exec, exec, s[2:3]
	v_or_b32_e32 v0, 0x400, v0
	v_cmp_gt_u32_e64 s[2:3], s10, v0
	s_and_saveexec_b64 s[10:11], s[2:3]
	s_cbranch_execnz .LBB4_13
; %bb.6:
	s_or_b64 exec, exec, s[10:11]
	s_and_saveexec_b64 s[10:11], s[0:1]
	s_cbranch_execnz .LBB4_14
.LBB4_7:
	s_or_b64 exec, exec, s[10:11]
	s_and_saveexec_b64 s[0:1], s[2:3]
.LBB4_8:
	s_or_b64 s[6:7], s[6:7], exec
.LBB4_9:
	s_or_b64 exec, exec, s[0:1]
.LBB4_10:
	s_and_saveexec_b64 s[0:1], s[6:7]
	s_cbranch_execnz .LBB4_12
; %bb.11:
	s_endpgm
.LBB4_12:
	s_add_u32 s0, s8, s4
	s_addc_u32 s1, s9, s5
	v_mov_b32_e32 v0, s1
	v_add_co_u32_e32 v1, vcc, s0, v1
	s_waitcnt vmcnt(0)
	v_addc_co_u32_e32 v2, vcc, 0, v0, vcc
	v_add_co_u32_e32 v0, vcc, 0x1000, v1
	v_addc_co_u32_e32 v1, vcc, 0, v2, vcc
	global_store_dword v[0:1], v3, off
	s_endpgm
.LBB4_13:
	v_add_co_u32_e32 v4, vcc, 0x1000, v4
	v_addc_co_u32_e32 v5, vcc, 0, v5, vcc
	global_load_dword v3, v[4:5], off
	s_or_b64 exec, exec, s[10:11]
	s_and_saveexec_b64 s[10:11], s[0:1]
	s_cbranch_execz .LBB4_7
.LBB4_14:
	s_add_u32 s0, s8, s4
	s_addc_u32 s1, s9, s5
	s_waitcnt vmcnt(0)
	global_store_dword v1, v2, s[0:1]
	s_or_b64 exec, exec, s[10:11]
	s_and_saveexec_b64 s[0:1], s[2:3]
	s_cbranch_execnz .LBB4_8
	s_branch .LBB4_9
	.section	.rodata,"a",@progbits
	.p2align	6, 0x0
	.amdhsa_kernel _ZN7rocprim17ROCPRIM_304000_NS6detail16transform_kernelINS1_24wrapped_transform_configINS0_14default_configEiEEiPiS6_NS0_8identityIiEEEEvT1_mT2_T3_
		.amdhsa_group_segment_fixed_size 0
		.amdhsa_private_segment_fixed_size 0
		.amdhsa_kernarg_size 288
		.amdhsa_user_sgpr_count 6
		.amdhsa_user_sgpr_private_segment_buffer 1
		.amdhsa_user_sgpr_dispatch_ptr 0
		.amdhsa_user_sgpr_queue_ptr 0
		.amdhsa_user_sgpr_kernarg_segment_ptr 1
		.amdhsa_user_sgpr_dispatch_id 0
		.amdhsa_user_sgpr_flat_scratch_init 0
		.amdhsa_user_sgpr_kernarg_preload_length 0
		.amdhsa_user_sgpr_kernarg_preload_offset 0
		.amdhsa_user_sgpr_private_segment_size 0
		.amdhsa_uses_dynamic_stack 0
		.amdhsa_system_sgpr_private_segment_wavefront_offset 0
		.amdhsa_system_sgpr_workgroup_id_x 1
		.amdhsa_system_sgpr_workgroup_id_y 0
		.amdhsa_system_sgpr_workgroup_id_z 0
		.amdhsa_system_sgpr_workgroup_info 0
		.amdhsa_system_vgpr_workitem_id 0
		.amdhsa_next_free_vgpr 7
		.amdhsa_next_free_sgpr 12
		.amdhsa_accum_offset 8
		.amdhsa_reserve_vcc 1
		.amdhsa_reserve_flat_scratch 0
		.amdhsa_float_round_mode_32 0
		.amdhsa_float_round_mode_16_64 0
		.amdhsa_float_denorm_mode_32 3
		.amdhsa_float_denorm_mode_16_64 3
		.amdhsa_dx10_clamp 1
		.amdhsa_ieee_mode 1
		.amdhsa_fp16_overflow 0
		.amdhsa_tg_split 0
		.amdhsa_exception_fp_ieee_invalid_op 0
		.amdhsa_exception_fp_denorm_src 0
		.amdhsa_exception_fp_ieee_div_zero 0
		.amdhsa_exception_fp_ieee_overflow 0
		.amdhsa_exception_fp_ieee_underflow 0
		.amdhsa_exception_fp_ieee_inexact 0
		.amdhsa_exception_int_div_zero 0
	.end_amdhsa_kernel
	.section	.text._ZN7rocprim17ROCPRIM_304000_NS6detail16transform_kernelINS1_24wrapped_transform_configINS0_14default_configEiEEiPiS6_NS0_8identityIiEEEEvT1_mT2_T3_,"axG",@progbits,_ZN7rocprim17ROCPRIM_304000_NS6detail16transform_kernelINS1_24wrapped_transform_configINS0_14default_configEiEEiPiS6_NS0_8identityIiEEEEvT1_mT2_T3_,comdat
.Lfunc_end4:
	.size	_ZN7rocprim17ROCPRIM_304000_NS6detail16transform_kernelINS1_24wrapped_transform_configINS0_14default_configEiEEiPiS6_NS0_8identityIiEEEEvT1_mT2_T3_, .Lfunc_end4-_ZN7rocprim17ROCPRIM_304000_NS6detail16transform_kernelINS1_24wrapped_transform_configINS0_14default_configEiEEiPiS6_NS0_8identityIiEEEEvT1_mT2_T3_
                                        ; -- End function
	.section	.AMDGPU.csdata,"",@progbits
; Kernel info:
; codeLenInByte = 352
; NumSgprs: 16
; NumVgprs: 7
; NumAgprs: 0
; TotalNumVgprs: 7
; ScratchSize: 0
; MemoryBound: 0
; FloatMode: 240
; IeeeMode: 1
; LDSByteSize: 0 bytes/workgroup (compile time only)
; SGPRBlocks: 1
; VGPRBlocks: 0
; NumSGPRsForWavesPerEU: 16
; NumVGPRsForWavesPerEU: 7
; AccumOffset: 8
; Occupancy: 8
; WaveLimiterHint : 1
; COMPUTE_PGM_RSRC2:SCRATCH_EN: 0
; COMPUTE_PGM_RSRC2:USER_SGPR: 6
; COMPUTE_PGM_RSRC2:TRAP_HANDLER: 0
; COMPUTE_PGM_RSRC2:TGID_X_EN: 1
; COMPUTE_PGM_RSRC2:TGID_Y_EN: 0
; COMPUTE_PGM_RSRC2:TGID_Z_EN: 0
; COMPUTE_PGM_RSRC2:TIDIG_COMP_CNT: 0
; COMPUTE_PGM_RSRC3_GFX90A:ACCUM_OFFSET: 1
; COMPUTE_PGM_RSRC3_GFX90A:TG_SPLIT: 0
	.section	.text._ZN7rocprim17ROCPRIM_304000_NS6detail18single_scan_kernelILb0ENS1_19wrapped_scan_configINS0_14default_configEiEEPKiPiSt4plusIvEiiEEvT1_mT4_T2_T3_,"axG",@progbits,_ZN7rocprim17ROCPRIM_304000_NS6detail18single_scan_kernelILb0ENS1_19wrapped_scan_configINS0_14default_configEiEEPKiPiSt4plusIvEiiEEvT1_mT4_T2_T3_,comdat
	.protected	_ZN7rocprim17ROCPRIM_304000_NS6detail18single_scan_kernelILb0ENS1_19wrapped_scan_configINS0_14default_configEiEEPKiPiSt4plusIvEiiEEvT1_mT4_T2_T3_ ; -- Begin function _ZN7rocprim17ROCPRIM_304000_NS6detail18single_scan_kernelILb0ENS1_19wrapped_scan_configINS0_14default_configEiEEPKiPiSt4plusIvEiiEEvT1_mT4_T2_T3_
	.globl	_ZN7rocprim17ROCPRIM_304000_NS6detail18single_scan_kernelILb0ENS1_19wrapped_scan_configINS0_14default_configEiEEPKiPiSt4plusIvEiiEEvT1_mT4_T2_T3_
	.p2align	8
	.type	_ZN7rocprim17ROCPRIM_304000_NS6detail18single_scan_kernelILb0ENS1_19wrapped_scan_configINS0_14default_configEiEEPKiPiSt4plusIvEiiEEvT1_mT4_T2_T3_,@function
_ZN7rocprim17ROCPRIM_304000_NS6detail18single_scan_kernelILb0ENS1_19wrapped_scan_configINS0_14default_configEiEEPKiPiSt4plusIvEiiEEvT1_mT4_T2_T3_: ; @_ZN7rocprim17ROCPRIM_304000_NS6detail18single_scan_kernelILb0ENS1_19wrapped_scan_configINS0_14default_configEiEEPKiPiSt4plusIvEiiEEvT1_mT4_T2_T3_
; %bb.0:
	s_load_dwordx4 s[20:23], s[4:5], 0x0
	v_lshlrev_b32_e32 v14, 2, v0
	s_waitcnt lgkmcnt(0)
	s_load_dword s8, s[20:21], 0x0
	v_mov_b32_e32 v1, s21
	v_add_co_u32_e32 v12, vcc, s20, v14
	v_addc_co_u32_e32 v13, vcc, 0, v1, vcc
	s_waitcnt lgkmcnt(0)
	s_mov_b32 s9, s8
	s_mov_b32 s10, s8
	;; [unrolled: 1-line block ×9, first 2 shown]
	v_pk_mov_b32 v[2:3], s[8:9], s[8:9] op_sel:[0,1]
	v_cmp_gt_u32_e64 s[0:1], s22, v0
	v_pk_mov_b32 v[4:5], s[10:11], s[10:11] op_sel:[0,1]
	v_pk_mov_b32 v[6:7], s[12:13], s[12:13] op_sel:[0,1]
	;; [unrolled: 1-line block ×4, first 2 shown]
	v_mov_b32_e32 v1, s8
	s_and_saveexec_b64 s[2:3], s[0:1]
	s_cbranch_execz .LBB5_2
; %bb.1:
	global_load_dword v1, v[12:13], off
	v_pk_mov_b32 v[2:3], s[8:9], s[8:9] op_sel:[0,1]
	v_pk_mov_b32 v[4:5], s[10:11], s[10:11] op_sel:[0,1]
	;; [unrolled: 1-line block ×5, first 2 shown]
                                        ; kill: def $vgpr2 killed $vgpr1 killed $exec
.LBB5_2:
	s_or_b64 exec, exec, s[2:3]
	v_or_b32_e32 v2, 0x80, v0
	v_cmp_gt_u32_e64 s[2:3], s22, v2
	s_and_saveexec_b64 s[6:7], s[2:3]
	s_cbranch_execz .LBB5_4
; %bb.3:
	global_load_dword v3, v[12:13], off offset:512
.LBB5_4:
	s_or_b64 exec, exec, s[6:7]
	v_or_b32_e32 v2, 0x100, v0
	v_cmp_gt_u32_e64 s[6:7], s22, v2
	s_and_saveexec_b64 s[8:9], s[6:7]
	s_cbranch_execz .LBB5_6
; %bb.5:
	global_load_dword v4, v[12:13], off offset:1024
.LBB5_6:
	;; [unrolled: 8-line block ×7, first 2 shown]
	s_or_b64 exec, exec, s[18:19]
	v_or_b32_e32 v2, 0x400, v0
	v_cmp_gt_u32_e64 s[18:19], s22, v2
	s_and_saveexec_b64 s[20:21], s[18:19]
	s_cbranch_execz .LBB5_18
; %bb.17:
	v_add_co_u32_e32 v16, vcc, 0x1000, v12
	v_addc_co_u32_e32 v17, vcc, 0, v13, vcc
	global_load_dword v10, v[16:17], off
.LBB5_18:
	s_or_b64 exec, exec, s[20:21]
	v_or_b32_e32 v2, 0x480, v0
	v_cmp_gt_u32_e64 s[20:21], s22, v2
	s_and_saveexec_b64 s[22:23], s[20:21]
	s_cbranch_execz .LBB5_20
; %bb.19:
	v_add_co_u32_e32 v12, vcc, 0x1000, v12
	v_addc_co_u32_e32 v13, vcc, 0, v13, vcc
	global_load_dword v11, v[12:13], off offset:512
.LBB5_20:
	s_or_b64 exec, exec, s[22:23]
	s_waitcnt vmcnt(0)
	ds_write2st64_b32 v14, v1, v3 offset1:2
	ds_write2st64_b32 v14, v4, v5 offset0:4 offset1:6
	ds_write2st64_b32 v14, v6, v7 offset0:8 offset1:10
	;; [unrolled: 1-line block ×4, first 2 shown]
	v_mad_u32_u24 v1, v0, 36, v14
	s_waitcnt lgkmcnt(0)
	s_barrier
	ds_read2_b64 v[6:9], v1 offset1:1
	ds_read2_b64 v[2:5], v1 offset0:2 offset1:3
	ds_read_b64 v[10:11], v1 offset:32
	v_lshrrev_b32_e32 v12, 3, v0
	v_and_b32_e32 v12, 12, v12
	s_waitcnt lgkmcnt(2)
	v_add_u32_e32 v1, v7, v6
	v_add3_u32 v1, v1, v8, v9
	s_waitcnt lgkmcnt(1)
	v_add3_u32 v1, v1, v2, v3
	v_add3_u32 v1, v1, v4, v5
	s_waitcnt lgkmcnt(0)
	v_add3_u32 v1, v1, v10, v11
	v_add_u32_e32 v12, v14, v12
	v_cmp_gt_u32_e32 vcc, 64, v0
	s_barrier
	ds_write_b32 v12, v1
	s_waitcnt lgkmcnt(0)
	s_barrier
	s_and_saveexec_b64 s[22:23], vcc
	s_cbranch_execz .LBB5_22
; %bb.21:
	v_lshlrev_b32_e32 v12, 1, v0
	v_lshrrev_b32_e32 v13, 4, v0
	v_add_lshl_u32 v15, v13, v12, 2
	ds_read2_b32 v[12:13], v15 offset1:1
	v_mbcnt_lo_u32_b32 v16, -1, 0
	v_mbcnt_hi_u32_b32 v16, -1, v16
	v_and_b32_e32 v17, 15, v16
	v_cmp_ne_u32_e32 vcc, 0, v17
	s_waitcnt lgkmcnt(0)
	v_add_u32_e32 v18, v13, v12
	s_nop 1
	v_mov_b32_dpp v19, v18 row_shr:1 row_mask:0xf bank_mask:0xf
	v_cndmask_b32_e32 v19, 0, v19, vcc
	v_add_u32_e32 v18, v19, v18
	v_cmp_lt_u32_e32 vcc, 1, v17
	s_nop 0
	v_mov_b32_dpp v19, v18 row_shr:2 row_mask:0xf bank_mask:0xf
	v_cndmask_b32_e32 v19, 0, v19, vcc
	v_add_u32_e32 v18, v18, v19
	v_cmp_lt_u32_e32 vcc, 3, v17
	s_nop 0
	v_mov_b32_dpp v19, v18 row_shr:4 row_mask:0xf bank_mask:0xf
	v_cndmask_b32_e32 v19, 0, v19, vcc
	v_add_u32_e32 v18, v18, v19
	v_cmp_lt_u32_e32 vcc, 7, v17
	s_nop 0
	v_mov_b32_dpp v19, v18 row_shr:8 row_mask:0xf bank_mask:0xf
	v_cndmask_b32_e32 v17, 0, v19, vcc
	v_add_u32_e32 v17, v18, v17
	v_bfe_i32 v19, v16, 4, 1
	v_cmp_lt_u32_e32 vcc, 31, v16
	v_mov_b32_dpp v18, v17 row_bcast:15 row_mask:0xf bank_mask:0xf
	v_and_b32_e32 v18, v19, v18
	v_add_u32_e32 v17, v17, v18
	v_and_b32_e32 v19, 64, v16
	s_nop 0
	v_mov_b32_dpp v18, v17 row_bcast:31 row_mask:0xf bank_mask:0xf
	v_cndmask_b32_e32 v18, 0, v18, vcc
	v_add_u32_e32 v17, v17, v18
	v_add_u32_e32 v18, -1, v16
	v_cmp_lt_i32_e32 vcc, v18, v19
	v_cndmask_b32_e32 v16, v18, v16, vcc
	v_lshlrev_b32_e32 v16, 2, v16
	ds_bpermute_b32 v16, v16, v17
	v_cmp_eq_u32_e32 vcc, 0, v0
	s_waitcnt lgkmcnt(0)
	v_add_u32_e32 v12, v16, v12
	v_cndmask_b32_e32 v1, v12, v1, vcc
	v_add_u32_e32 v12, v1, v13
	ds_write2_b32 v15, v1, v12 offset1:1
.LBB5_22:
	s_or_b64 exec, exec, s[22:23]
	v_mul_u32_u24_e32 v1, 36, v0
	v_cmp_ne_u32_e32 vcc, 0, v0
	v_mov_b32_e32 v12, 0
	s_waitcnt lgkmcnt(0)
	s_barrier
	s_and_saveexec_b64 s[22:23], vcc
	s_cbranch_execz .LBB5_24
; %bb.23:
	v_add_u32_e32 v0, -1, v0
	v_lshrrev_b32_e32 v12, 5, v0
	v_add_lshl_u32 v0, v12, v0, 2
	ds_read_b32 v12, v0
.LBB5_24:
	s_or_b64 exec, exec, s[22:23]
	s_waitcnt lgkmcnt(0)
	v_add_u32_e32 v6, v12, v6
	v_add_u32_e32 v7, v6, v7
	;; [unrolled: 1-line block ×11, first 2 shown]
	s_barrier
	ds_write2_b64 v0, v[6:7], v[8:9] offset1:1
	ds_write2_b64 v0, v[2:3], v[4:5] offset0:2 offset1:3
	ds_write_b64 v0, v[10:11] offset:32
	s_waitcnt lgkmcnt(0)
	s_barrier
	ds_read2st64_b32 v[8:9], v14 offset0:2 offset1:4
	ds_read2st64_b32 v[6:7], v14 offset0:6 offset1:8
	;; [unrolled: 1-line block ×4, first 2 shown]
	ds_read_b32 v10, v14 offset:4608
	s_load_dwordx2 s[4:5], s[4:5], 0x18
	s_waitcnt lgkmcnt(0)
	v_mov_b32_e32 v1, s5
	v_add_co_u32_e32 v0, vcc, s4, v14
	v_addc_co_u32_e32 v1, vcc, 0, v1, vcc
	s_and_saveexec_b64 s[4:5], s[0:1]
	s_cbranch_execnz .LBB5_35
; %bb.25:
	s_or_b64 exec, exec, s[4:5]
	s_and_saveexec_b64 s[0:1], s[2:3]
	s_cbranch_execnz .LBB5_36
.LBB5_26:
	s_or_b64 exec, exec, s[0:1]
	s_and_saveexec_b64 s[0:1], s[6:7]
	s_cbranch_execnz .LBB5_37
.LBB5_27:
	s_or_b64 exec, exec, s[0:1]
	s_and_saveexec_b64 s[0:1], s[8:9]
	s_cbranch_execnz .LBB5_38
.LBB5_28:
	s_or_b64 exec, exec, s[0:1]
	s_and_saveexec_b64 s[0:1], s[10:11]
	s_cbranch_execnz .LBB5_39
.LBB5_29:
	s_or_b64 exec, exec, s[0:1]
	s_and_saveexec_b64 s[0:1], s[12:13]
	s_cbranch_execnz .LBB5_40
.LBB5_30:
	s_or_b64 exec, exec, s[0:1]
	s_and_saveexec_b64 s[0:1], s[14:15]
	s_cbranch_execnz .LBB5_41
.LBB5_31:
	s_or_b64 exec, exec, s[0:1]
	s_and_saveexec_b64 s[0:1], s[16:17]
	s_cbranch_execnz .LBB5_42
.LBB5_32:
	s_or_b64 exec, exec, s[0:1]
	s_and_saveexec_b64 s[0:1], s[18:19]
	s_cbranch_execnz .LBB5_43
.LBB5_33:
	s_or_b64 exec, exec, s[0:1]
	s_and_saveexec_b64 s[0:1], s[20:21]
	s_cbranch_execnz .LBB5_44
.LBB5_34:
	s_endpgm
.LBB5_35:
	ds_read_b32 v11, v14
	s_waitcnt lgkmcnt(0)
	global_store_dword v[0:1], v11, off
	s_or_b64 exec, exec, s[4:5]
	s_and_saveexec_b64 s[0:1], s[2:3]
	s_cbranch_execz .LBB5_26
.LBB5_36:
	global_store_dword v[0:1], v8, off offset:512
	s_or_b64 exec, exec, s[0:1]
	s_and_saveexec_b64 s[0:1], s[6:7]
	s_cbranch_execz .LBB5_27
.LBB5_37:
	global_store_dword v[0:1], v9, off offset:1024
	s_or_b64 exec, exec, s[0:1]
	s_and_saveexec_b64 s[0:1], s[8:9]
	s_cbranch_execz .LBB5_28
.LBB5_38:
	global_store_dword v[0:1], v6, off offset:1536
	s_or_b64 exec, exec, s[0:1]
	s_and_saveexec_b64 s[0:1], s[10:11]
	s_cbranch_execz .LBB5_29
.LBB5_39:
	global_store_dword v[0:1], v7, off offset:2048
	s_or_b64 exec, exec, s[0:1]
	s_and_saveexec_b64 s[0:1], s[12:13]
	s_cbranch_execz .LBB5_30
.LBB5_40:
	global_store_dword v[0:1], v4, off offset:2560
	s_or_b64 exec, exec, s[0:1]
	s_and_saveexec_b64 s[0:1], s[14:15]
	s_cbranch_execz .LBB5_31
.LBB5_41:
	global_store_dword v[0:1], v5, off offset:3072
	s_or_b64 exec, exec, s[0:1]
	s_and_saveexec_b64 s[0:1], s[16:17]
	s_cbranch_execz .LBB5_32
.LBB5_42:
	global_store_dword v[0:1], v2, off offset:3584
	s_or_b64 exec, exec, s[0:1]
	s_and_saveexec_b64 s[0:1], s[18:19]
	s_cbranch_execz .LBB5_33
.LBB5_43:
	v_add_co_u32_e32 v4, vcc, 0x1000, v0
	v_addc_co_u32_e32 v5, vcc, 0, v1, vcc
	global_store_dword v[4:5], v3, off
	s_or_b64 exec, exec, s[0:1]
	s_and_saveexec_b64 s[0:1], s[20:21]
	s_cbranch_execz .LBB5_34
.LBB5_44:
	v_add_co_u32_e32 v0, vcc, 0x1000, v0
	v_addc_co_u32_e32 v1, vcc, 0, v1, vcc
	global_store_dword v[0:1], v10, off offset:512
	s_endpgm
	.section	.rodata,"a",@progbits
	.p2align	6, 0x0
	.amdhsa_kernel _ZN7rocprim17ROCPRIM_304000_NS6detail18single_scan_kernelILb0ENS1_19wrapped_scan_configINS0_14default_configEiEEPKiPiSt4plusIvEiiEEvT1_mT4_T2_T3_
		.amdhsa_group_segment_fixed_size 5120
		.amdhsa_private_segment_fixed_size 0
		.amdhsa_kernarg_size 36
		.amdhsa_user_sgpr_count 6
		.amdhsa_user_sgpr_private_segment_buffer 1
		.amdhsa_user_sgpr_dispatch_ptr 0
		.amdhsa_user_sgpr_queue_ptr 0
		.amdhsa_user_sgpr_kernarg_segment_ptr 1
		.amdhsa_user_sgpr_dispatch_id 0
		.amdhsa_user_sgpr_flat_scratch_init 0
		.amdhsa_user_sgpr_kernarg_preload_length 0
		.amdhsa_user_sgpr_kernarg_preload_offset 0
		.amdhsa_user_sgpr_private_segment_size 0
		.amdhsa_uses_dynamic_stack 0
		.amdhsa_system_sgpr_private_segment_wavefront_offset 0
		.amdhsa_system_sgpr_workgroup_id_x 1
		.amdhsa_system_sgpr_workgroup_id_y 0
		.amdhsa_system_sgpr_workgroup_id_z 0
		.amdhsa_system_sgpr_workgroup_info 0
		.amdhsa_system_vgpr_workitem_id 0
		.amdhsa_next_free_vgpr 20
		.amdhsa_next_free_sgpr 24
		.amdhsa_accum_offset 20
		.amdhsa_reserve_vcc 1
		.amdhsa_reserve_flat_scratch 0
		.amdhsa_float_round_mode_32 0
		.amdhsa_float_round_mode_16_64 0
		.amdhsa_float_denorm_mode_32 3
		.amdhsa_float_denorm_mode_16_64 3
		.amdhsa_dx10_clamp 1
		.amdhsa_ieee_mode 1
		.amdhsa_fp16_overflow 0
		.amdhsa_tg_split 0
		.amdhsa_exception_fp_ieee_invalid_op 0
		.amdhsa_exception_fp_denorm_src 0
		.amdhsa_exception_fp_ieee_div_zero 0
		.amdhsa_exception_fp_ieee_overflow 0
		.amdhsa_exception_fp_ieee_underflow 0
		.amdhsa_exception_fp_ieee_inexact 0
		.amdhsa_exception_int_div_zero 0
	.end_amdhsa_kernel
	.section	.text._ZN7rocprim17ROCPRIM_304000_NS6detail18single_scan_kernelILb0ENS1_19wrapped_scan_configINS0_14default_configEiEEPKiPiSt4plusIvEiiEEvT1_mT4_T2_T3_,"axG",@progbits,_ZN7rocprim17ROCPRIM_304000_NS6detail18single_scan_kernelILb0ENS1_19wrapped_scan_configINS0_14default_configEiEEPKiPiSt4plusIvEiiEEvT1_mT4_T2_T3_,comdat
.Lfunc_end5:
	.size	_ZN7rocprim17ROCPRIM_304000_NS6detail18single_scan_kernelILb0ENS1_19wrapped_scan_configINS0_14default_configEiEEPKiPiSt4plusIvEiiEEvT1_mT4_T2_T3_, .Lfunc_end5-_ZN7rocprim17ROCPRIM_304000_NS6detail18single_scan_kernelILb0ENS1_19wrapped_scan_configINS0_14default_configEiEEPKiPiSt4plusIvEiiEEvT1_mT4_T2_T3_
                                        ; -- End function
	.section	.AMDGPU.csdata,"",@progbits
; Kernel info:
; codeLenInByte = 1520
; NumSgprs: 28
; NumVgprs: 20
; NumAgprs: 0
; TotalNumVgprs: 20
; ScratchSize: 0
; MemoryBound: 0
; FloatMode: 240
; IeeeMode: 1
; LDSByteSize: 5120 bytes/workgroup (compile time only)
; SGPRBlocks: 3
; VGPRBlocks: 2
; NumSGPRsForWavesPerEU: 28
; NumVGPRsForWavesPerEU: 20
; AccumOffset: 20
; Occupancy: 6
; WaveLimiterHint : 0
; COMPUTE_PGM_RSRC2:SCRATCH_EN: 0
; COMPUTE_PGM_RSRC2:USER_SGPR: 6
; COMPUTE_PGM_RSRC2:TRAP_HANDLER: 0
; COMPUTE_PGM_RSRC2:TGID_X_EN: 1
; COMPUTE_PGM_RSRC2:TGID_Y_EN: 0
; COMPUTE_PGM_RSRC2:TGID_Z_EN: 0
; COMPUTE_PGM_RSRC2:TIDIG_COMP_CNT: 0
; COMPUTE_PGM_RSRC3_GFX90A:ACCUM_OFFSET: 4
; COMPUTE_PGM_RSRC3_GFX90A:TG_SPLIT: 0
	.section	.text._ZN7rocprim17ROCPRIM_304000_NS6detail31init_lookback_scan_state_kernelINS1_19lookback_scan_stateIlLb1ELb1EEEEEvT_jjPNS5_10value_typeE,"axG",@progbits,_ZN7rocprim17ROCPRIM_304000_NS6detail31init_lookback_scan_state_kernelINS1_19lookback_scan_stateIlLb1ELb1EEEEEvT_jjPNS5_10value_typeE,comdat
	.protected	_ZN7rocprim17ROCPRIM_304000_NS6detail31init_lookback_scan_state_kernelINS1_19lookback_scan_stateIlLb1ELb1EEEEEvT_jjPNS5_10value_typeE ; -- Begin function _ZN7rocprim17ROCPRIM_304000_NS6detail31init_lookback_scan_state_kernelINS1_19lookback_scan_stateIlLb1ELb1EEEEEvT_jjPNS5_10value_typeE
	.globl	_ZN7rocprim17ROCPRIM_304000_NS6detail31init_lookback_scan_state_kernelINS1_19lookback_scan_stateIlLb1ELb1EEEEEvT_jjPNS5_10value_typeE
	.p2align	8
	.type	_ZN7rocprim17ROCPRIM_304000_NS6detail31init_lookback_scan_state_kernelINS1_19lookback_scan_stateIlLb1ELb1EEEEEvT_jjPNS5_10value_typeE,@function
_ZN7rocprim17ROCPRIM_304000_NS6detail31init_lookback_scan_state_kernelINS1_19lookback_scan_stateIlLb1ELb1EEEEEvT_jjPNS5_10value_typeE: ; @_ZN7rocprim17ROCPRIM_304000_NS6detail31init_lookback_scan_state_kernelINS1_19lookback_scan_stateIlLb1ELb1EEEEEvT_jjPNS5_10value_typeE
; %bb.0:
	s_load_dword s7, s[4:5], 0x24
	s_load_dwordx2 s[8:9], s[4:5], 0x10
	s_load_dwordx4 s[0:3], s[4:5], 0x0
	s_waitcnt lgkmcnt(0)
	s_and_b32 s4, s7, 0xffff
	s_mul_i32 s6, s6, s4
	s_cmp_eq_u64 s[8:9], 0
	v_add_u32_e32 v0, s6, v0
	s_cbranch_scc1 .LBB6_10
; %bb.1:
	s_cmp_lt_u32 s3, s2
	s_cselect_b32 s4, s3, 0
	s_mov_b32 s7, 0
	v_cmp_eq_u32_e32 vcc, s4, v0
	s_and_saveexec_b64 s[4:5], vcc
	s_cbranch_execz .LBB6_9
; %bb.2:
	s_add_i32 s6, s3, 64
	s_lshl_b64 s[6:7], s[6:7], 4
	s_add_u32 s12, s0, s6
	s_addc_u32 s13, s1, s7
	v_pk_mov_b32 v[2:3], s[12:13], s[12:13] op_sel:[0,1]
	;;#ASMSTART
	global_load_dwordx4 v[2:5], v[2:3] off glc	
s_waitcnt vmcnt(0)
	;;#ASMEND
	v_mov_b32_e32 v7, 0
	v_and_b32_e32 v6, 0xff, v4
	s_mov_b64 s[10:11], 0
	v_cmp_eq_u64_e32 vcc, 0, v[6:7]
	s_and_saveexec_b64 s[6:7], vcc
	s_cbranch_execz .LBB6_8
; %bb.3:
	s_mov_b32 s3, 1
	v_pk_mov_b32 v[8:9], s[12:13], s[12:13] op_sel:[0,1]
.LBB6_4:                                ; =>This Loop Header: Depth=1
                                        ;     Child Loop BB6_5 Depth 2
	s_max_u32 s12, s3, 1
.LBB6_5:                                ;   Parent Loop BB6_4 Depth=1
                                        ; =>  This Inner Loop Header: Depth=2
	s_add_i32 s12, s12, -1
	s_cmp_eq_u32 s12, 0
	s_sleep 1
	s_cbranch_scc0 .LBB6_5
; %bb.6:                                ;   in Loop: Header=BB6_4 Depth=1
	s_cmp_lt_u32 s3, 32
	s_cselect_b64 s[12:13], -1, 0
	s_cmp_lg_u64 s[12:13], 0
	;;#ASMSTART
	global_load_dwordx4 v[2:5], v[8:9] off glc	
s_waitcnt vmcnt(0)
	;;#ASMEND
	v_and_b32_e32 v6, 0xff, v4
	s_addc_u32 s3, s3, 0
	v_cmp_ne_u64_e32 vcc, 0, v[6:7]
	s_or_b64 s[10:11], vcc, s[10:11]
	s_andn2_b64 exec, exec, s[10:11]
	s_cbranch_execnz .LBB6_4
; %bb.7:
	s_or_b64 exec, exec, s[10:11]
.LBB6_8:
	s_or_b64 exec, exec, s[6:7]
	v_mov_b32_e32 v1, 0
	global_store_dwordx2 v1, v[2:3], s[8:9]
.LBB6_9:
	s_or_b64 exec, exec, s[4:5]
.LBB6_10:
	v_cmp_gt_u32_e32 vcc, s2, v0
	s_and_saveexec_b64 s[2:3], vcc
	s_cbranch_execnz .LBB6_13
; %bb.11:
	s_or_b64 exec, exec, s[2:3]
	v_cmp_gt_u32_e32 vcc, 64, v0
	s_and_saveexec_b64 s[2:3], vcc
	s_cbranch_execnz .LBB6_14
.LBB6_12:
	s_endpgm
.LBB6_13:
	v_add_u32_e32 v2, 64, v0
	v_mov_b32_e32 v3, 0
	v_lshlrev_b64 v[4:5], 4, v[2:3]
	v_mov_b32_e32 v1, s1
	v_add_co_u32_e32 v6, vcc, s0, v4
	v_addc_co_u32_e32 v7, vcc, v1, v5, vcc
	v_mov_b32_e32 v2, v3
	v_mov_b32_e32 v4, v3
	;; [unrolled: 1-line block ×3, first 2 shown]
	global_store_dwordx4 v[6:7], v[2:5], off
	s_or_b64 exec, exec, s[2:3]
	v_cmp_gt_u32_e32 vcc, 64, v0
	s_and_saveexec_b64 s[2:3], vcc
	s_cbranch_execz .LBB6_12
.LBB6_14:
	v_mov_b32_e32 v1, 0
	v_lshlrev_b64 v[2:3], 4, v[0:1]
	v_mov_b32_e32 v0, s1
	v_add_co_u32_e32 v4, vcc, s0, v2
	v_addc_co_u32_e32 v5, vcc, v0, v3, vcc
	v_mov_b32_e32 v2, 0xff
	v_mov_b32_e32 v0, v1
	;; [unrolled: 1-line block ×3, first 2 shown]
	global_store_dwordx4 v[4:5], v[0:3], off
	s_endpgm
	.section	.rodata,"a",@progbits
	.p2align	6, 0x0
	.amdhsa_kernel _ZN7rocprim17ROCPRIM_304000_NS6detail31init_lookback_scan_state_kernelINS1_19lookback_scan_stateIlLb1ELb1EEEEEvT_jjPNS5_10value_typeE
		.amdhsa_group_segment_fixed_size 0
		.amdhsa_private_segment_fixed_size 0
		.amdhsa_kernarg_size 280
		.amdhsa_user_sgpr_count 6
		.amdhsa_user_sgpr_private_segment_buffer 1
		.amdhsa_user_sgpr_dispatch_ptr 0
		.amdhsa_user_sgpr_queue_ptr 0
		.amdhsa_user_sgpr_kernarg_segment_ptr 1
		.amdhsa_user_sgpr_dispatch_id 0
		.amdhsa_user_sgpr_flat_scratch_init 0
		.amdhsa_user_sgpr_kernarg_preload_length 0
		.amdhsa_user_sgpr_kernarg_preload_offset 0
		.amdhsa_user_sgpr_private_segment_size 0
		.amdhsa_uses_dynamic_stack 0
		.amdhsa_system_sgpr_private_segment_wavefront_offset 0
		.amdhsa_system_sgpr_workgroup_id_x 1
		.amdhsa_system_sgpr_workgroup_id_y 0
		.amdhsa_system_sgpr_workgroup_id_z 0
		.amdhsa_system_sgpr_workgroup_info 0
		.amdhsa_system_vgpr_workitem_id 0
		.amdhsa_next_free_vgpr 10
		.amdhsa_next_free_sgpr 14
		.amdhsa_accum_offset 12
		.amdhsa_reserve_vcc 1
		.amdhsa_reserve_flat_scratch 0
		.amdhsa_float_round_mode_32 0
		.amdhsa_float_round_mode_16_64 0
		.amdhsa_float_denorm_mode_32 3
		.amdhsa_float_denorm_mode_16_64 3
		.amdhsa_dx10_clamp 1
		.amdhsa_ieee_mode 1
		.amdhsa_fp16_overflow 0
		.amdhsa_tg_split 0
		.amdhsa_exception_fp_ieee_invalid_op 0
		.amdhsa_exception_fp_denorm_src 0
		.amdhsa_exception_fp_ieee_div_zero 0
		.amdhsa_exception_fp_ieee_overflow 0
		.amdhsa_exception_fp_ieee_underflow 0
		.amdhsa_exception_fp_ieee_inexact 0
		.amdhsa_exception_int_div_zero 0
	.end_amdhsa_kernel
	.section	.text._ZN7rocprim17ROCPRIM_304000_NS6detail31init_lookback_scan_state_kernelINS1_19lookback_scan_stateIlLb1ELb1EEEEEvT_jjPNS5_10value_typeE,"axG",@progbits,_ZN7rocprim17ROCPRIM_304000_NS6detail31init_lookback_scan_state_kernelINS1_19lookback_scan_stateIlLb1ELb1EEEEEvT_jjPNS5_10value_typeE,comdat
.Lfunc_end6:
	.size	_ZN7rocprim17ROCPRIM_304000_NS6detail31init_lookback_scan_state_kernelINS1_19lookback_scan_stateIlLb1ELb1EEEEEvT_jjPNS5_10value_typeE, .Lfunc_end6-_ZN7rocprim17ROCPRIM_304000_NS6detail31init_lookback_scan_state_kernelINS1_19lookback_scan_stateIlLb1ELb1EEEEEvT_jjPNS5_10value_typeE
                                        ; -- End function
	.section	.AMDGPU.csdata,"",@progbits
; Kernel info:
; codeLenInByte = 404
; NumSgprs: 18
; NumVgprs: 10
; NumAgprs: 0
; TotalNumVgprs: 10
; ScratchSize: 0
; MemoryBound: 0
; FloatMode: 240
; IeeeMode: 1
; LDSByteSize: 0 bytes/workgroup (compile time only)
; SGPRBlocks: 2
; VGPRBlocks: 1
; NumSGPRsForWavesPerEU: 18
; NumVGPRsForWavesPerEU: 10
; AccumOffset: 12
; Occupancy: 8
; WaveLimiterHint : 0
; COMPUTE_PGM_RSRC2:SCRATCH_EN: 0
; COMPUTE_PGM_RSRC2:USER_SGPR: 6
; COMPUTE_PGM_RSRC2:TRAP_HANDLER: 0
; COMPUTE_PGM_RSRC2:TGID_X_EN: 1
; COMPUTE_PGM_RSRC2:TGID_Y_EN: 0
; COMPUTE_PGM_RSRC2:TGID_Z_EN: 0
; COMPUTE_PGM_RSRC2:TIDIG_COMP_CNT: 0
; COMPUTE_PGM_RSRC3_GFX90A:ACCUM_OFFSET: 2
; COMPUTE_PGM_RSRC3_GFX90A:TG_SPLIT: 0
	.section	.text._ZN7rocprim17ROCPRIM_304000_NS6detail31init_lookback_scan_state_kernelINS1_19lookback_scan_stateIlLb0ELb1EEEEEvT_jjPNS5_10value_typeE,"axG",@progbits,_ZN7rocprim17ROCPRIM_304000_NS6detail31init_lookback_scan_state_kernelINS1_19lookback_scan_stateIlLb0ELb1EEEEEvT_jjPNS5_10value_typeE,comdat
	.protected	_ZN7rocprim17ROCPRIM_304000_NS6detail31init_lookback_scan_state_kernelINS1_19lookback_scan_stateIlLb0ELb1EEEEEvT_jjPNS5_10value_typeE ; -- Begin function _ZN7rocprim17ROCPRIM_304000_NS6detail31init_lookback_scan_state_kernelINS1_19lookback_scan_stateIlLb0ELb1EEEEEvT_jjPNS5_10value_typeE
	.globl	_ZN7rocprim17ROCPRIM_304000_NS6detail31init_lookback_scan_state_kernelINS1_19lookback_scan_stateIlLb0ELb1EEEEEvT_jjPNS5_10value_typeE
	.p2align	8
	.type	_ZN7rocprim17ROCPRIM_304000_NS6detail31init_lookback_scan_state_kernelINS1_19lookback_scan_stateIlLb0ELb1EEEEEvT_jjPNS5_10value_typeE,@function
_ZN7rocprim17ROCPRIM_304000_NS6detail31init_lookback_scan_state_kernelINS1_19lookback_scan_stateIlLb0ELb1EEEEEvT_jjPNS5_10value_typeE: ; @_ZN7rocprim17ROCPRIM_304000_NS6detail31init_lookback_scan_state_kernelINS1_19lookback_scan_stateIlLb0ELb1EEEEEvT_jjPNS5_10value_typeE
; %bb.0:
	s_load_dword s7, s[4:5], 0x24
	s_load_dwordx2 s[8:9], s[4:5], 0x10
	s_load_dwordx4 s[0:3], s[4:5], 0x0
	s_waitcnt lgkmcnt(0)
	s_and_b32 s4, s7, 0xffff
	s_mul_i32 s6, s6, s4
	s_cmp_eq_u64 s[8:9], 0
	v_add_u32_e32 v0, s6, v0
	s_cbranch_scc1 .LBB7_8
; %bb.1:
	s_cmp_lt_u32 s3, s2
	s_cselect_b32 s4, s3, 0
	s_mov_b32 s7, 0
	v_cmp_eq_u32_e32 vcc, s4, v0
	s_and_saveexec_b64 s[4:5], vcc
	s_cbranch_execz .LBB7_7
; %bb.2:
	s_add_i32 s6, s3, 64
	s_lshl_b64 s[6:7], s[6:7], 4
	s_add_u32 s12, s0, s6
	s_addc_u32 s13, s1, s7
	v_pk_mov_b32 v[2:3], s[12:13], s[12:13] op_sel:[0,1]
	;;#ASMSTART
	global_load_dwordx4 v[2:5], v[2:3] off glc	
s_waitcnt vmcnt(0)
	;;#ASMEND
	v_mov_b32_e32 v7, 0
	v_and_b32_e32 v6, 0xff, v4
	s_mov_b64 s[10:11], 0
	v_cmp_eq_u64_e32 vcc, 0, v[6:7]
	s_and_saveexec_b64 s[6:7], vcc
	s_cbranch_execz .LBB7_6
; %bb.3:
	v_pk_mov_b32 v[8:9], s[12:13], s[12:13] op_sel:[0,1]
.LBB7_4:                                ; =>This Inner Loop Header: Depth=1
	;;#ASMSTART
	global_load_dwordx4 v[2:5], v[8:9] off glc	
s_waitcnt vmcnt(0)
	;;#ASMEND
	v_and_b32_e32 v6, 0xff, v4
	v_cmp_ne_u64_e32 vcc, 0, v[6:7]
	s_or_b64 s[10:11], vcc, s[10:11]
	s_andn2_b64 exec, exec, s[10:11]
	s_cbranch_execnz .LBB7_4
; %bb.5:
	s_or_b64 exec, exec, s[10:11]
.LBB7_6:
	s_or_b64 exec, exec, s[6:7]
	v_mov_b32_e32 v1, 0
	global_store_dwordx2 v1, v[2:3], s[8:9]
.LBB7_7:
	s_or_b64 exec, exec, s[4:5]
.LBB7_8:
	v_cmp_gt_u32_e32 vcc, s2, v0
	s_and_saveexec_b64 s[2:3], vcc
	s_cbranch_execnz .LBB7_11
; %bb.9:
	s_or_b64 exec, exec, s[2:3]
	v_cmp_gt_u32_e32 vcc, 64, v0
	s_and_saveexec_b64 s[2:3], vcc
	s_cbranch_execnz .LBB7_12
.LBB7_10:
	s_endpgm
.LBB7_11:
	v_add_u32_e32 v2, 64, v0
	v_mov_b32_e32 v3, 0
	v_lshlrev_b64 v[4:5], 4, v[2:3]
	v_mov_b32_e32 v1, s1
	v_add_co_u32_e32 v6, vcc, s0, v4
	v_addc_co_u32_e32 v7, vcc, v1, v5, vcc
	v_mov_b32_e32 v2, v3
	v_mov_b32_e32 v4, v3
	;; [unrolled: 1-line block ×3, first 2 shown]
	global_store_dwordx4 v[6:7], v[2:5], off
	s_or_b64 exec, exec, s[2:3]
	v_cmp_gt_u32_e32 vcc, 64, v0
	s_and_saveexec_b64 s[2:3], vcc
	s_cbranch_execz .LBB7_10
.LBB7_12:
	v_mov_b32_e32 v1, 0
	v_lshlrev_b64 v[2:3], 4, v[0:1]
	v_mov_b32_e32 v0, s1
	v_add_co_u32_e32 v4, vcc, s0, v2
	v_addc_co_u32_e32 v5, vcc, v0, v3, vcc
	v_mov_b32_e32 v2, 0xff
	v_mov_b32_e32 v0, v1
	;; [unrolled: 1-line block ×3, first 2 shown]
	global_store_dwordx4 v[4:5], v[0:3], off
	s_endpgm
	.section	.rodata,"a",@progbits
	.p2align	6, 0x0
	.amdhsa_kernel _ZN7rocprim17ROCPRIM_304000_NS6detail31init_lookback_scan_state_kernelINS1_19lookback_scan_stateIlLb0ELb1EEEEEvT_jjPNS5_10value_typeE
		.amdhsa_group_segment_fixed_size 0
		.amdhsa_private_segment_fixed_size 0
		.amdhsa_kernarg_size 280
		.amdhsa_user_sgpr_count 6
		.amdhsa_user_sgpr_private_segment_buffer 1
		.amdhsa_user_sgpr_dispatch_ptr 0
		.amdhsa_user_sgpr_queue_ptr 0
		.amdhsa_user_sgpr_kernarg_segment_ptr 1
		.amdhsa_user_sgpr_dispatch_id 0
		.amdhsa_user_sgpr_flat_scratch_init 0
		.amdhsa_user_sgpr_kernarg_preload_length 0
		.amdhsa_user_sgpr_kernarg_preload_offset 0
		.amdhsa_user_sgpr_private_segment_size 0
		.amdhsa_uses_dynamic_stack 0
		.amdhsa_system_sgpr_private_segment_wavefront_offset 0
		.amdhsa_system_sgpr_workgroup_id_x 1
		.amdhsa_system_sgpr_workgroup_id_y 0
		.amdhsa_system_sgpr_workgroup_id_z 0
		.amdhsa_system_sgpr_workgroup_info 0
		.amdhsa_system_vgpr_workitem_id 0
		.amdhsa_next_free_vgpr 10
		.amdhsa_next_free_sgpr 14
		.amdhsa_accum_offset 12
		.amdhsa_reserve_vcc 1
		.amdhsa_reserve_flat_scratch 0
		.amdhsa_float_round_mode_32 0
		.amdhsa_float_round_mode_16_64 0
		.amdhsa_float_denorm_mode_32 3
		.amdhsa_float_denorm_mode_16_64 3
		.amdhsa_dx10_clamp 1
		.amdhsa_ieee_mode 1
		.amdhsa_fp16_overflow 0
		.amdhsa_tg_split 0
		.amdhsa_exception_fp_ieee_invalid_op 0
		.amdhsa_exception_fp_denorm_src 0
		.amdhsa_exception_fp_ieee_div_zero 0
		.amdhsa_exception_fp_ieee_overflow 0
		.amdhsa_exception_fp_ieee_underflow 0
		.amdhsa_exception_fp_ieee_inexact 0
		.amdhsa_exception_int_div_zero 0
	.end_amdhsa_kernel
	.section	.text._ZN7rocprim17ROCPRIM_304000_NS6detail31init_lookback_scan_state_kernelINS1_19lookback_scan_stateIlLb0ELb1EEEEEvT_jjPNS5_10value_typeE,"axG",@progbits,_ZN7rocprim17ROCPRIM_304000_NS6detail31init_lookback_scan_state_kernelINS1_19lookback_scan_stateIlLb0ELb1EEEEEvT_jjPNS5_10value_typeE,comdat
.Lfunc_end7:
	.size	_ZN7rocprim17ROCPRIM_304000_NS6detail31init_lookback_scan_state_kernelINS1_19lookback_scan_stateIlLb0ELb1EEEEEvT_jjPNS5_10value_typeE, .Lfunc_end7-_ZN7rocprim17ROCPRIM_304000_NS6detail31init_lookback_scan_state_kernelINS1_19lookback_scan_stateIlLb0ELb1EEEEEvT_jjPNS5_10value_typeE
                                        ; -- End function
	.section	.AMDGPU.csdata,"",@progbits
; Kernel info:
; codeLenInByte = 364
; NumSgprs: 18
; NumVgprs: 10
; NumAgprs: 0
; TotalNumVgprs: 10
; ScratchSize: 0
; MemoryBound: 0
; FloatMode: 240
; IeeeMode: 1
; LDSByteSize: 0 bytes/workgroup (compile time only)
; SGPRBlocks: 2
; VGPRBlocks: 1
; NumSGPRsForWavesPerEU: 18
; NumVGPRsForWavesPerEU: 10
; AccumOffset: 12
; Occupancy: 8
; WaveLimiterHint : 0
; COMPUTE_PGM_RSRC2:SCRATCH_EN: 0
; COMPUTE_PGM_RSRC2:USER_SGPR: 6
; COMPUTE_PGM_RSRC2:TRAP_HANDLER: 0
; COMPUTE_PGM_RSRC2:TGID_X_EN: 1
; COMPUTE_PGM_RSRC2:TGID_Y_EN: 0
; COMPUTE_PGM_RSRC2:TGID_Z_EN: 0
; COMPUTE_PGM_RSRC2:TIDIG_COMP_CNT: 0
; COMPUTE_PGM_RSRC3_GFX90A:ACCUM_OFFSET: 2
; COMPUTE_PGM_RSRC3_GFX90A:TG_SPLIT: 0
	.section	.text._ZN7rocprim17ROCPRIM_304000_NS6detail20lookback_scan_kernelILNS1_25lookback_scan_determinismE0ELb0ENS1_19wrapped_scan_configINS0_14default_configElEEPKlPlSt4plusIvEllNS1_19lookback_scan_stateIlLb1ELb1EEEEEvT2_T3_mT5_T4_T7_jPT6_SK_bb,"axG",@progbits,_ZN7rocprim17ROCPRIM_304000_NS6detail20lookback_scan_kernelILNS1_25lookback_scan_determinismE0ELb0ENS1_19wrapped_scan_configINS0_14default_configElEEPKlPlSt4plusIvEllNS1_19lookback_scan_stateIlLb1ELb1EEEEEvT2_T3_mT5_T4_T7_jPT6_SK_bb,comdat
	.protected	_ZN7rocprim17ROCPRIM_304000_NS6detail20lookback_scan_kernelILNS1_25lookback_scan_determinismE0ELb0ENS1_19wrapped_scan_configINS0_14default_configElEEPKlPlSt4plusIvEllNS1_19lookback_scan_stateIlLb1ELb1EEEEEvT2_T3_mT5_T4_T7_jPT6_SK_bb ; -- Begin function _ZN7rocprim17ROCPRIM_304000_NS6detail20lookback_scan_kernelILNS1_25lookback_scan_determinismE0ELb0ENS1_19wrapped_scan_configINS0_14default_configElEEPKlPlSt4plusIvEllNS1_19lookback_scan_stateIlLb1ELb1EEEEEvT2_T3_mT5_T4_T7_jPT6_SK_bb
	.globl	_ZN7rocprim17ROCPRIM_304000_NS6detail20lookback_scan_kernelILNS1_25lookback_scan_determinismE0ELb0ENS1_19wrapped_scan_configINS0_14default_configElEEPKlPlSt4plusIvEllNS1_19lookback_scan_stateIlLb1ELb1EEEEEvT2_T3_mT5_T4_T7_jPT6_SK_bb
	.p2align	8
	.type	_ZN7rocprim17ROCPRIM_304000_NS6detail20lookback_scan_kernelILNS1_25lookback_scan_determinismE0ELb0ENS1_19wrapped_scan_configINS0_14default_configElEEPKlPlSt4plusIvEllNS1_19lookback_scan_stateIlLb1ELb1EEEEEvT2_T3_mT5_T4_T7_jPT6_SK_bb,@function
_ZN7rocprim17ROCPRIM_304000_NS6detail20lookback_scan_kernelILNS1_25lookback_scan_determinismE0ELb0ENS1_19wrapped_scan_configINS0_14default_configElEEPKlPlSt4plusIvEllNS1_19lookback_scan_stateIlLb1ELb1EEEEEvT2_T3_mT5_T4_T7_jPT6_SK_bb: ; @_ZN7rocprim17ROCPRIM_304000_NS6detail20lookback_scan_kernelILNS1_25lookback_scan_determinismE0ELb0ENS1_19wrapped_scan_configINS0_14default_configElEEPKlPlSt4plusIvEllNS1_19lookback_scan_stateIlLb1ELb1EEEEEvT2_T3_mT5_T4_T7_jPT6_SK_bb
; %bb.0:
	s_endpgm
	.section	.rodata,"a",@progbits
	.p2align	6, 0x0
	.amdhsa_kernel _ZN7rocprim17ROCPRIM_304000_NS6detail20lookback_scan_kernelILNS1_25lookback_scan_determinismE0ELb0ENS1_19wrapped_scan_configINS0_14default_configElEEPKlPlSt4plusIvEllNS1_19lookback_scan_stateIlLb1ELb1EEEEEvT2_T3_mT5_T4_T7_jPT6_SK_bb
		.amdhsa_group_segment_fixed_size 0
		.amdhsa_private_segment_fixed_size 0
		.amdhsa_kernarg_size 76
		.amdhsa_user_sgpr_count 6
		.amdhsa_user_sgpr_private_segment_buffer 1
		.amdhsa_user_sgpr_dispatch_ptr 0
		.amdhsa_user_sgpr_queue_ptr 0
		.amdhsa_user_sgpr_kernarg_segment_ptr 1
		.amdhsa_user_sgpr_dispatch_id 0
		.amdhsa_user_sgpr_flat_scratch_init 0
		.amdhsa_user_sgpr_kernarg_preload_length 0
		.amdhsa_user_sgpr_kernarg_preload_offset 0
		.amdhsa_user_sgpr_private_segment_size 0
		.amdhsa_uses_dynamic_stack 0
		.amdhsa_system_sgpr_private_segment_wavefront_offset 0
		.amdhsa_system_sgpr_workgroup_id_x 1
		.amdhsa_system_sgpr_workgroup_id_y 0
		.amdhsa_system_sgpr_workgroup_id_z 0
		.amdhsa_system_sgpr_workgroup_info 0
		.amdhsa_system_vgpr_workitem_id 0
		.amdhsa_next_free_vgpr 1
		.amdhsa_next_free_sgpr 0
		.amdhsa_accum_offset 4
		.amdhsa_reserve_vcc 0
		.amdhsa_reserve_flat_scratch 0
		.amdhsa_float_round_mode_32 0
		.amdhsa_float_round_mode_16_64 0
		.amdhsa_float_denorm_mode_32 3
		.amdhsa_float_denorm_mode_16_64 3
		.amdhsa_dx10_clamp 1
		.amdhsa_ieee_mode 1
		.amdhsa_fp16_overflow 0
		.amdhsa_tg_split 0
		.amdhsa_exception_fp_ieee_invalid_op 0
		.amdhsa_exception_fp_denorm_src 0
		.amdhsa_exception_fp_ieee_div_zero 0
		.amdhsa_exception_fp_ieee_overflow 0
		.amdhsa_exception_fp_ieee_underflow 0
		.amdhsa_exception_fp_ieee_inexact 0
		.amdhsa_exception_int_div_zero 0
	.end_amdhsa_kernel
	.section	.text._ZN7rocprim17ROCPRIM_304000_NS6detail20lookback_scan_kernelILNS1_25lookback_scan_determinismE0ELb0ENS1_19wrapped_scan_configINS0_14default_configElEEPKlPlSt4plusIvEllNS1_19lookback_scan_stateIlLb1ELb1EEEEEvT2_T3_mT5_T4_T7_jPT6_SK_bb,"axG",@progbits,_ZN7rocprim17ROCPRIM_304000_NS6detail20lookback_scan_kernelILNS1_25lookback_scan_determinismE0ELb0ENS1_19wrapped_scan_configINS0_14default_configElEEPKlPlSt4plusIvEllNS1_19lookback_scan_stateIlLb1ELb1EEEEEvT2_T3_mT5_T4_T7_jPT6_SK_bb,comdat
.Lfunc_end8:
	.size	_ZN7rocprim17ROCPRIM_304000_NS6detail20lookback_scan_kernelILNS1_25lookback_scan_determinismE0ELb0ENS1_19wrapped_scan_configINS0_14default_configElEEPKlPlSt4plusIvEllNS1_19lookback_scan_stateIlLb1ELb1EEEEEvT2_T3_mT5_T4_T7_jPT6_SK_bb, .Lfunc_end8-_ZN7rocprim17ROCPRIM_304000_NS6detail20lookback_scan_kernelILNS1_25lookback_scan_determinismE0ELb0ENS1_19wrapped_scan_configINS0_14default_configElEEPKlPlSt4plusIvEllNS1_19lookback_scan_stateIlLb1ELb1EEEEEvT2_T3_mT5_T4_T7_jPT6_SK_bb
                                        ; -- End function
	.section	.AMDGPU.csdata,"",@progbits
; Kernel info:
; codeLenInByte = 4
; NumSgprs: 4
; NumVgprs: 0
; NumAgprs: 0
; TotalNumVgprs: 0
; ScratchSize: 0
; MemoryBound: 0
; FloatMode: 240
; IeeeMode: 1
; LDSByteSize: 0 bytes/workgroup (compile time only)
; SGPRBlocks: 0
; VGPRBlocks: 0
; NumSGPRsForWavesPerEU: 4
; NumVGPRsForWavesPerEU: 1
; AccumOffset: 4
; Occupancy: 8
; WaveLimiterHint : 0
; COMPUTE_PGM_RSRC2:SCRATCH_EN: 0
; COMPUTE_PGM_RSRC2:USER_SGPR: 6
; COMPUTE_PGM_RSRC2:TRAP_HANDLER: 0
; COMPUTE_PGM_RSRC2:TGID_X_EN: 1
; COMPUTE_PGM_RSRC2:TGID_Y_EN: 0
; COMPUTE_PGM_RSRC2:TGID_Z_EN: 0
; COMPUTE_PGM_RSRC2:TIDIG_COMP_CNT: 0
; COMPUTE_PGM_RSRC3_GFX90A:ACCUM_OFFSET: 0
; COMPUTE_PGM_RSRC3_GFX90A:TG_SPLIT: 0
	.section	.text._ZN7rocprim17ROCPRIM_304000_NS6detail20lookback_scan_kernelILNS1_25lookback_scan_determinismE0ELb0ENS1_19wrapped_scan_configINS0_14default_configElEEPKlPlSt4plusIvEllNS1_19lookback_scan_stateIlLb0ELb1EEEEEvT2_T3_mT5_T4_T7_jPT6_SK_bb,"axG",@progbits,_ZN7rocprim17ROCPRIM_304000_NS6detail20lookback_scan_kernelILNS1_25lookback_scan_determinismE0ELb0ENS1_19wrapped_scan_configINS0_14default_configElEEPKlPlSt4plusIvEllNS1_19lookback_scan_stateIlLb0ELb1EEEEEvT2_T3_mT5_T4_T7_jPT6_SK_bb,comdat
	.protected	_ZN7rocprim17ROCPRIM_304000_NS6detail20lookback_scan_kernelILNS1_25lookback_scan_determinismE0ELb0ENS1_19wrapped_scan_configINS0_14default_configElEEPKlPlSt4plusIvEllNS1_19lookback_scan_stateIlLb0ELb1EEEEEvT2_T3_mT5_T4_T7_jPT6_SK_bb ; -- Begin function _ZN7rocprim17ROCPRIM_304000_NS6detail20lookback_scan_kernelILNS1_25lookback_scan_determinismE0ELb0ENS1_19wrapped_scan_configINS0_14default_configElEEPKlPlSt4plusIvEllNS1_19lookback_scan_stateIlLb0ELb1EEEEEvT2_T3_mT5_T4_T7_jPT6_SK_bb
	.globl	_ZN7rocprim17ROCPRIM_304000_NS6detail20lookback_scan_kernelILNS1_25lookback_scan_determinismE0ELb0ENS1_19wrapped_scan_configINS0_14default_configElEEPKlPlSt4plusIvEllNS1_19lookback_scan_stateIlLb0ELb1EEEEEvT2_T3_mT5_T4_T7_jPT6_SK_bb
	.p2align	8
	.type	_ZN7rocprim17ROCPRIM_304000_NS6detail20lookback_scan_kernelILNS1_25lookback_scan_determinismE0ELb0ENS1_19wrapped_scan_configINS0_14default_configElEEPKlPlSt4plusIvEllNS1_19lookback_scan_stateIlLb0ELb1EEEEEvT2_T3_mT5_T4_T7_jPT6_SK_bb,@function
_ZN7rocprim17ROCPRIM_304000_NS6detail20lookback_scan_kernelILNS1_25lookback_scan_determinismE0ELb0ENS1_19wrapped_scan_configINS0_14default_configElEEPKlPlSt4plusIvEllNS1_19lookback_scan_stateIlLb0ELb1EEEEEvT2_T3_mT5_T4_T7_jPT6_SK_bb: ; @_ZN7rocprim17ROCPRIM_304000_NS6detail20lookback_scan_kernelILNS1_25lookback_scan_determinismE0ELb0ENS1_19wrapped_scan_configINS0_14default_configElEEPKlPlSt4plusIvEllNS1_19lookback_scan_stateIlLb0ELb1EEEEEvT2_T3_mT5_T4_T7_jPT6_SK_bb
; %bb.0:
	s_load_dword s3, s[4:5], 0x30
	s_load_dwordx4 s[8:11], s[4:5], 0x0
	s_load_dwordx2 s[0:1], s[4:5], 0x10
	s_mul_i32 s2, s6, 0x540
	v_lshlrev_b32_e32 v58, 3, v0
	s_waitcnt lgkmcnt(0)
	s_add_i32 s7, s3, -1
	s_mul_i32 s12, s7, 0x540
	s_sub_u32 s22, s0, s12
	s_subb_u32 s23, s1, 0
	s_mov_b32 s3, 0
	s_cmp_lg_u32 s6, s7
	s_cselect_b64 s[16:17], -1, 0
	s_lshl_b64 s[18:19], s[2:3], 3
	s_add_u32 s8, s8, s18
	s_addc_u32 s9, s9, s19
	s_mov_b64 s[0:1], -1
	s_and_b64 vcc, exec, s[16:17]
	s_cbranch_vccz .LBB9_2
; %bb.1:
	v_mov_b32_e32 v1, s9
	v_add_co_u32_e32 v36, vcc, s8, v58
	v_addc_co_u32_e32 v1, vcc, 0, v1, vcc
	v_add_co_u32_e32 v18, vcc, 0x1000, v36
	v_addc_co_u32_e32 v19, vcc, 0, v1, vcc
	global_load_dwordx2 v[2:3], v58, s[8:9]
	global_load_dwordx2 v[4:5], v58, s[8:9] offset:512
	global_load_dwordx2 v[6:7], v58, s[8:9] offset:1024
	;; [unrolled: 1-line block ×7, first 2 shown]
	global_load_dwordx2 v[20:21], v[18:19], off
	global_load_dwordx2 v[22:23], v[18:19], off offset:512
	global_load_dwordx2 v[24:25], v[18:19], off offset:1024
	;; [unrolled: 1-line block ×7, first 2 shown]
	v_add_co_u32_e32 v18, vcc, 0x2000, v36
	v_addc_co_u32_e32 v19, vcc, 0, v1, vcc
	global_load_dwordx2 v[36:37], v[18:19], off
	global_load_dwordx2 v[38:39], v[18:19], off offset:512
	global_load_dwordx2 v[40:41], v[18:19], off offset:1024
	global_load_dwordx2 v[42:43], v[18:19], off offset:1536
	global_load_dwordx2 v[44:45], v[18:19], off offset:2048
	s_mov_b64 s[0:1], 0
	s_waitcnt vmcnt(19)
	ds_write2st64_b64 v58, v[2:3], v[4:5] offset1:1
	s_waitcnt vmcnt(17)
	ds_write2st64_b64 v58, v[6:7], v[8:9] offset0:2 offset1:3
	s_waitcnt vmcnt(15)
	ds_write2st64_b64 v58, v[10:11], v[12:13] offset0:4 offset1:5
	;; [unrolled: 2-line block ×9, first 2 shown]
	s_waitcnt vmcnt(0)
	ds_write_b64 v58, v[44:45] offset:10240
	s_waitcnt lgkmcnt(0)
	; wave barrier
.LBB9_2:
	s_andn2_b64 vcc, exec, s[0:1]
	v_cmp_gt_u32_e64 s[0:1], s22, v0
	s_cbranch_vccnz .LBB9_46
; %bb.3:
	s_load_dwordx2 s[2:3], s[8:9], 0x0
	v_mov_b32_e32 v1, s9
	v_add_co_u32_e32 v4, vcc, s8, v58
	v_addc_co_u32_e32 v5, vcc, 0, v1, vcc
	s_waitcnt lgkmcnt(0)
	v_pk_mov_b32 v[2:3], s[2:3], s[2:3] op_sel:[0,1]
	s_and_saveexec_b64 s[8:9], s[0:1]
	s_cbranch_execz .LBB9_5
; %bb.4:
	global_load_dwordx2 v[2:3], v[4:5], off
.LBB9_5:
	s_or_b64 exec, exec, s[8:9]
	v_or_b32_e32 v1, 64, v0
	v_cmp_gt_u32_e32 vcc, s22, v1
	v_pk_mov_b32 v[6:7], s[2:3], s[2:3] op_sel:[0,1]
	s_and_saveexec_b64 s[0:1], vcc
	s_cbranch_execz .LBB9_7
; %bb.6:
	global_load_dwordx2 v[6:7], v[4:5], off offset:512
.LBB9_7:
	s_or_b64 exec, exec, s[0:1]
	v_or_b32_e32 v1, 0x80, v0
	v_cmp_gt_u32_e32 vcc, s22, v1
	v_pk_mov_b32 v[8:9], s[2:3], s[2:3] op_sel:[0,1]
	s_and_saveexec_b64 s[0:1], vcc
	s_cbranch_execz .LBB9_9
; %bb.8:
	global_load_dwordx2 v[8:9], v[4:5], off offset:1024
.LBB9_9:
	;; [unrolled: 9-line block ×7, first 2 shown]
	s_or_b64 exec, exec, s[0:1]
	v_or_b32_e32 v1, 0x200, v0
	v_cmp_gt_u32_e32 vcc, s22, v1
	v_pk_mov_b32 v[20:21], s[2:3], s[2:3] op_sel:[0,1]
	s_and_saveexec_b64 s[0:1], vcc
	s_cbranch_execz .LBB9_21
; %bb.20:
	v_add_co_u32_e32 v20, vcc, 0x1000, v4
	v_addc_co_u32_e32 v21, vcc, 0, v5, vcc
	global_load_dwordx2 v[20:21], v[20:21], off
.LBB9_21:
	s_or_b64 exec, exec, s[0:1]
	v_or_b32_e32 v1, 0x240, v0
	v_cmp_gt_u32_e32 vcc, s22, v1
	v_pk_mov_b32 v[22:23], s[2:3], s[2:3] op_sel:[0,1]
	s_and_saveexec_b64 s[0:1], vcc
	s_cbranch_execz .LBB9_23
; %bb.22:
	v_add_co_u32_e32 v22, vcc, 0x1000, v4
	v_addc_co_u32_e32 v23, vcc, 0, v5, vcc
	global_load_dwordx2 v[22:23], v[22:23], off offset:512
.LBB9_23:
	s_or_b64 exec, exec, s[0:1]
	v_or_b32_e32 v1, 0x280, v0
	v_cmp_gt_u32_e32 vcc, s22, v1
	v_pk_mov_b32 v[24:25], s[2:3], s[2:3] op_sel:[0,1]
	s_and_saveexec_b64 s[0:1], vcc
	s_cbranch_execz .LBB9_25
; %bb.24:
	v_add_co_u32_e32 v24, vcc, 0x1000, v4
	v_addc_co_u32_e32 v25, vcc, 0, v5, vcc
	global_load_dwordx2 v[24:25], v[24:25], off offset:1024
.LBB9_25:
	;; [unrolled: 11-line block ×7, first 2 shown]
	s_or_b64 exec, exec, s[0:1]
	v_or_b32_e32 v1, 0x400, v0
	v_cmp_gt_u32_e32 vcc, s22, v1
	v_pk_mov_b32 v[36:37], s[2:3], s[2:3] op_sel:[0,1]
	s_and_saveexec_b64 s[0:1], vcc
	s_cbranch_execz .LBB9_37
; %bb.36:
	v_add_co_u32_e32 v36, vcc, 0x2000, v4
	v_addc_co_u32_e32 v37, vcc, 0, v5, vcc
	global_load_dwordx2 v[36:37], v[36:37], off
.LBB9_37:
	s_or_b64 exec, exec, s[0:1]
	v_or_b32_e32 v1, 0x440, v0
	v_cmp_gt_u32_e32 vcc, s22, v1
	v_pk_mov_b32 v[38:39], s[2:3], s[2:3] op_sel:[0,1]
	s_and_saveexec_b64 s[0:1], vcc
	s_cbranch_execz .LBB9_39
; %bb.38:
	v_add_co_u32_e32 v38, vcc, 0x2000, v4
	v_addc_co_u32_e32 v39, vcc, 0, v5, vcc
	global_load_dwordx2 v[38:39], v[38:39], off offset:512
.LBB9_39:
	s_or_b64 exec, exec, s[0:1]
	v_or_b32_e32 v1, 0x480, v0
	v_cmp_gt_u32_e32 vcc, s22, v1
	v_pk_mov_b32 v[40:41], s[2:3], s[2:3] op_sel:[0,1]
	s_and_saveexec_b64 s[0:1], vcc
	s_cbranch_execz .LBB9_41
; %bb.40:
	v_add_co_u32_e32 v40, vcc, 0x2000, v4
	v_addc_co_u32_e32 v41, vcc, 0, v5, vcc
	global_load_dwordx2 v[40:41], v[40:41], off offset:1024
.LBB9_41:
	;; [unrolled: 11-line block ×4, first 2 shown]
	s_or_b64 exec, exec, s[0:1]
	s_waitcnt vmcnt(0)
	ds_write2st64_b64 v58, v[2:3], v[6:7] offset1:1
	ds_write2st64_b64 v58, v[8:9], v[10:11] offset0:2 offset1:3
	ds_write2st64_b64 v58, v[12:13], v[14:15] offset0:4 offset1:5
	;; [unrolled: 1-line block ×9, first 2 shown]
	ds_write_b64 v58, v[44:45] offset:10240
	s_waitcnt lgkmcnt(0)
	; wave barrier
.LBB9_46:
	v_mul_u32_u24_e32 v59, 21, v0
	v_lshlrev_b32_e32 v1, 3, v59
	s_waitcnt lgkmcnt(0)
	ds_read2_b64 v[34:37], v1 offset1:1
	ds_read2_b64 v[38:41], v1 offset0:2 offset1:3
	ds_read2_b64 v[30:33], v1 offset0:4 offset1:5
	;; [unrolled: 1-line block ×9, first 2 shown]
	ds_read_b64 v[50:51], v1 offset:160
	s_load_dwordx2 s[20:21], s[4:5], 0x28
	s_cmp_lg_u32 s6, 0
	v_mbcnt_lo_u32_b32 v60, -1, 0
	s_waitcnt lgkmcnt(0)
	; wave barrier
	s_waitcnt lgkmcnt(0)
	s_cbranch_scc0 .LBB9_71
; %bb.47:
	v_add_co_u32_e32 v1, vcc, v36, v34
	v_addc_co_u32_e32 v42, vcc, v37, v35, vcc
	v_add_co_u32_e32 v1, vcc, v1, v38
	v_addc_co_u32_e32 v42, vcc, v42, v39, vcc
	;; [unrolled: 2-line block ×20, first 2 shown]
	s_nop 0
	v_mov_b32_dpp v44, v42 row_shr:1 row_mask:0xf bank_mask:0xf
	v_add_co_u32_e32 v44, vcc, v42, v44
	v_addc_co_u32_e32 v46, vcc, 0, v43, vcc
	v_mbcnt_hi_u32_b32 v56, -1, v60
	v_mov_b32_dpp v45, v43 row_shr:1 row_mask:0xf bank_mask:0xf
	v_add_co_u32_e32 v47, vcc, 0, v44
	v_and_b32_e32 v1, 15, v56
	v_addc_co_u32_e32 v45, vcc, v45, v46, vcc
	v_cmp_eq_u32_e32 vcc, 0, v1
	v_cndmask_b32_e32 v44, v44, v42, vcc
	v_cndmask_b32_e32 v45, v45, v43, vcc
	v_cndmask_b32_e32 v46, v47, v42, vcc
	v_mov_b32_dpp v47, v44 row_shr:2 row_mask:0xf bank_mask:0xf
	v_mov_b32_dpp v48, v45 row_shr:2 row_mask:0xf bank_mask:0xf
	v_add_co_u32_e32 v47, vcc, v47, v46
	v_addc_co_u32_e32 v48, vcc, v48, v45, vcc
	v_cmp_lt_u32_e32 vcc, 1, v1
	v_cndmask_b32_e32 v44, v44, v47, vcc
	v_cndmask_b32_e32 v45, v45, v48, vcc
	v_cndmask_b32_e32 v46, v46, v47, vcc
	v_mov_b32_dpp v47, v44 row_shr:4 row_mask:0xf bank_mask:0xf
	v_mov_b32_dpp v48, v45 row_shr:4 row_mask:0xf bank_mask:0xf
	v_add_co_u32_e32 v47, vcc, v47, v46
	v_addc_co_u32_e32 v48, vcc, v48, v45, vcc
	v_cmp_lt_u32_e32 vcc, 3, v1
	;; [unrolled: 8-line block ×3, first 2 shown]
	v_cndmask_b32_e32 v49, v44, v47, vcc
	v_cndmask_b32_e32 v1, v45, v48, vcc
	;; [unrolled: 1-line block ×3, first 2 shown]
	v_mov_b32_dpp v45, v49 row_bcast:15 row_mask:0xf bank_mask:0xf
	v_mov_b32_dpp v46, v1 row_bcast:15 row_mask:0xf bank_mask:0xf
	v_add_co_u32_e32 v45, vcc, v45, v44
	v_and_b32_e32 v48, 16, v56
	v_addc_co_u32_e32 v47, vcc, v46, v1, vcc
	v_cmp_eq_u32_e32 vcc, 0, v48
	v_cndmask_b32_e32 v48, v47, v1, vcc
	v_cndmask_b32_e32 v46, v45, v49, vcc
	v_cmp_eq_u32_e64 s[0:1], 0, v56
	v_mov_b32_dpp v48, v48 row_bcast:31 row_mask:0xf bank_mask:0xf
	v_mov_b32_dpp v46, v46 row_bcast:31 row_mask:0xf bank_mask:0xf
	v_cmp_ne_u32_e64 s[2:3], 0, v56
	s_and_saveexec_b64 s[8:9], s[2:3]
; %bb.48:
	v_cndmask_b32_e32 v1, v47, v1, vcc
	v_cndmask_b32_e32 v42, v45, v44, vcc
	v_cmp_lt_u32_e32 vcc, 31, v56
	v_cndmask_b32_e32 v44, 0, v46, vcc
	v_cndmask_b32_e32 v43, 0, v48, vcc
	v_add_co_u32_e32 v42, vcc, v44, v42
	v_addc_co_u32_e32 v43, vcc, v43, v1, vcc
; %bb.49:
	s_or_b64 exec, exec, s[8:9]
	v_cmp_eq_u32_e32 vcc, 63, v0
	s_and_saveexec_b64 s[2:3], vcc
	s_cbranch_execz .LBB9_51
; %bb.50:
	v_mov_b32_e32 v1, 0
	ds_write_b64 v1, v[42:43]
.LBB9_51:
	s_or_b64 exec, exec, s[2:3]
	v_add_u32_e32 v1, -1, v56
	v_and_b32_e32 v44, 64, v56
	v_cmp_lt_i32_e32 vcc, v1, v44
	v_cndmask_b32_e32 v1, v1, v56, vcc
	v_lshlrev_b32_e32 v44, 2, v1
	ds_bpermute_b32 v1, v44, v42
	ds_bpermute_b32 v61, v44, v43
	v_cmp_gt_u32_e32 vcc, 64, v0
	s_waitcnt lgkmcnt(0)
	; wave barrier
	s_waitcnt lgkmcnt(0)
	s_and_saveexec_b64 s[12:13], vcc
	s_cbranch_execz .LBB9_70
; %bb.52:
	v_mov_b32_e32 v45, 0
	ds_read_b64 v[42:43], v45
	s_and_saveexec_b64 s[2:3], s[0:1]
	s_cbranch_execz .LBB9_54
; %bb.53:
	s_add_i32 s8, s6, 64
	s_mov_b32 s9, 0
	s_lshl_b64 s[8:9], s[8:9], 4
	s_add_u32 s8, s20, s8
	s_addc_u32 s9, s21, s9
	v_mov_b32_e32 v44, 1
	v_pk_mov_b32 v[46:47], s[8:9], s[8:9] op_sel:[0,1]
	s_waitcnt lgkmcnt(0)
	;;#ASMSTART
	global_store_dwordx4 v[46:47], v[42:45] off	
s_waitcnt vmcnt(0)
	;;#ASMEND
.LBB9_54:
	s_or_b64 exec, exec, s[2:3]
	v_xad_u32 v52, v56, -1, s6
	v_add_u32_e32 v44, 64, v52
	v_lshlrev_b64 v[46:47], 4, v[44:45]
	v_mov_b32_e32 v44, s21
	v_add_co_u32_e32 v54, vcc, s20, v46
	v_addc_co_u32_e32 v55, vcc, v44, v47, vcc
	;;#ASMSTART
	global_load_dwordx4 v[46:49], v[54:55] off glc	
s_waitcnt vmcnt(0)
	;;#ASMEND
	v_cmp_eq_u16_sdwa s[8:9], v48, v45 src0_sel:BYTE_0 src1_sel:DWORD
	s_and_saveexec_b64 s[2:3], s[8:9]
	s_cbranch_execz .LBB9_58
; %bb.55:
	s_mov_b64 s[8:9], 0
	v_mov_b32_e32 v44, 0
.LBB9_56:                               ; =>This Inner Loop Header: Depth=1
	;;#ASMSTART
	global_load_dwordx4 v[46:49], v[54:55] off glc	
s_waitcnt vmcnt(0)
	;;#ASMEND
	v_cmp_ne_u16_sdwa s[14:15], v48, v44 src0_sel:BYTE_0 src1_sel:DWORD
	s_or_b64 s[8:9], s[14:15], s[8:9]
	s_andn2_b64 exec, exec, s[8:9]
	s_cbranch_execnz .LBB9_56
; %bb.57:
	s_or_b64 exec, exec, s[8:9]
.LBB9_58:
	s_or_b64 exec, exec, s[2:3]
	v_mov_b32_e32 v62, 2
	v_cmp_eq_u16_sdwa s[2:3], v48, v62 src0_sel:BYTE_0 src1_sel:DWORD
	v_lshlrev_b64 v[44:45], v56, -1
	v_and_b32_e32 v49, s3, v45
	v_or_b32_e32 v49, 0x80000000, v49
	v_and_b32_e32 v53, s2, v44
	v_ffbl_b32_e32 v49, v49
	v_and_b32_e32 v54, 63, v56
	v_add_u32_e32 v49, 32, v49
	v_ffbl_b32_e32 v53, v53
	v_cmp_ne_u32_e32 vcc, 63, v54
	v_min_u32_e32 v49, v53, v49
	v_addc_co_u32_e32 v53, vcc, 0, v56, vcc
	v_lshlrev_b32_e32 v63, 2, v53
	ds_bpermute_b32 v55, v63, v46
	ds_bpermute_b32 v57, v63, v47
	v_cmp_gt_u32_e64 s[2:3], 62, v54
	v_add_u32_e32 v64, 1, v56
	v_cmp_gt_u32_e64 s[8:9], 60, v54
	s_waitcnt lgkmcnt(1)
	v_add_co_u32_e32 v55, vcc, v46, v55
	v_addc_co_u32_e32 v65, vcc, 0, v47, vcc
	v_add_co_u32_e32 v66, vcc, 0, v55
	s_waitcnt lgkmcnt(0)
	v_addc_co_u32_e32 v57, vcc, v57, v65, vcc
	v_cndmask_b32_e64 v65, 0, 1, s[2:3]
	v_cmp_le_u32_e32 vcc, v64, v49
	v_lshlrev_b32_e32 v65, 1, v65
	v_cndmask_b32_e32 v55, v46, v55, vcc
	v_add_lshl_u32 v65, v65, v56, 2
	v_cndmask_b32_e32 v57, v47, v57, vcc
	ds_bpermute_b32 v67, v65, v55
	ds_bpermute_b32 v69, v65, v57
	v_cndmask_b32_e32 v68, v46, v66, vcc
	v_add_u32_e32 v66, 2, v56
	v_mov_b32_e32 v53, 0
	s_waitcnt lgkmcnt(1)
	v_add_co_u32_e64 v67, s[2:3], v67, v68
	s_waitcnt lgkmcnt(0)
	v_addc_co_u32_e64 v69, s[2:3], v69, v57, s[2:3]
	v_cmp_le_u32_e64 s[2:3], v66, v49
	v_cndmask_b32_e64 v55, v55, v67, s[2:3]
	v_cndmask_b32_e64 v57, v57, v69, s[2:3]
	;; [unrolled: 1-line block ×4, first 2 shown]
	v_lshlrev_b32_e32 v67, 2, v67
	v_add_lshl_u32 v67, v67, v56, 2
	ds_bpermute_b32 v70, v67, v55
	ds_bpermute_b32 v71, v67, v57
	s_or_b64 s[8:9], vcc, s[2:3]
	v_add_u32_e32 v68, 4, v56
	v_cmp_gt_u32_e64 s[2:3], 56, v54
	s_waitcnt lgkmcnt(1)
	v_add_co_u32_e32 v70, vcc, v70, v69
	s_waitcnt lgkmcnt(0)
	v_addc_co_u32_e32 v71, vcc, v71, v57, vcc
	v_cmp_le_u32_e32 vcc, v68, v49
	v_cndmask_b32_e32 v57, v57, v71, vcc
	v_cndmask_b32_e32 v71, v69, v70, vcc
	v_cndmask_b32_e64 v69, 0, 1, s[2:3]
	v_lshlrev_b32_e32 v69, 3, v69
	v_cndmask_b32_e32 v55, v55, v70, vcc
	v_add_lshl_u32 v69, v69, v56, 2
	ds_bpermute_b32 v72, v69, v55
	ds_bpermute_b32 v73, v69, v57
	s_or_b64 s[8:9], vcc, s[8:9]
	v_add_u32_e32 v70, 8, v56
	v_cmp_gt_u32_e64 s[2:3], 48, v54
	s_waitcnt lgkmcnt(1)
	v_add_co_u32_e32 v72, vcc, v72, v71
	s_waitcnt lgkmcnt(0)
	v_addc_co_u32_e32 v73, vcc, v73, v57, vcc
	v_cmp_le_u32_e32 vcc, v70, v49
	v_cndmask_b32_e32 v75, v71, v72, vcc
	v_cndmask_b32_e64 v71, 0, 1, s[2:3]
	v_lshlrev_b32_e32 v71, 4, v71
	v_cndmask_b32_e32 v55, v55, v72, vcc
	v_add_lshl_u32 v71, v71, v56, 2
	v_cndmask_b32_e32 v57, v57, v73, vcc
	ds_bpermute_b32 v73, v71, v55
	ds_bpermute_b32 v74, v71, v57
	s_or_b64 s[2:3], vcc, s[8:9]
	v_add_u32_e32 v72, 16, v56
	s_waitcnt lgkmcnt(1)
	v_add_co_u32_e32 v76, vcc, v73, v75
	s_waitcnt lgkmcnt(0)
	v_addc_co_u32_e32 v74, vcc, v74, v57, vcc
	v_cmp_le_u32_e32 vcc, v72, v49
	s_or_b64 s[8:9], vcc, s[2:3]
	v_cmp_gt_u32_e64 s[2:3], 32, v54
	v_cndmask_b32_e64 v54, 0, 1, s[2:3]
	v_lshlrev_b32_e32 v54, 5, v54
	v_cndmask_b32_e32 v55, v55, v76, vcc
	v_add_lshl_u32 v73, v54, v56, 2
	v_cndmask_b32_e32 v54, v57, v74, vcc
	ds_bpermute_b32 v55, v73, v55
	ds_bpermute_b32 v57, v73, v54
	v_add_u32_e32 v74, 32, v56
	v_cndmask_b32_e32 v56, v75, v76, vcc
	v_cmp_le_u32_e32 vcc, v74, v49
	s_waitcnt lgkmcnt(1)
	v_cndmask_b32_e32 v55, 0, v55, vcc
	s_waitcnt lgkmcnt(0)
	v_cndmask_b32_e32 v49, 0, v57, vcc
	v_add_co_u32_e64 v55, s[2:3], v55, v56
	v_addc_co_u32_e64 v49, s[2:3], v49, v54, s[2:3]
	s_or_b64 vcc, vcc, s[8:9]
	v_cndmask_b32_e32 v47, v47, v49, vcc
	v_cndmask_b32_e32 v46, v46, v55, vcc
	s_branch .LBB9_60
.LBB9_59:                               ;   in Loop: Header=BB9_60 Depth=1
	s_or_b64 exec, exec, s[2:3]
	v_cmp_eq_u16_sdwa s[2:3], v48, v62 src0_sel:BYTE_0 src1_sel:DWORD
	v_and_b32_e32 v49, s3, v45
	v_or_b32_e32 v49, 0x80000000, v49
	ds_bpermute_b32 v57, v63, v46
	v_and_b32_e32 v56, s2, v44
	v_ffbl_b32_e32 v49, v49
	v_add_u32_e32 v49, 32, v49
	v_ffbl_b32_e32 v56, v56
	v_min_u32_e32 v49, v56, v49
	ds_bpermute_b32 v56, v63, v47
	s_waitcnt lgkmcnt(1)
	v_add_co_u32_e32 v57, vcc, v46, v57
	v_addc_co_u32_e32 v75, vcc, 0, v47, vcc
	v_add_co_u32_e32 v76, vcc, 0, v57
	s_waitcnt lgkmcnt(0)
	v_addc_co_u32_e32 v56, vcc, v56, v75, vcc
	v_cmp_le_u32_e32 vcc, v64, v49
	v_cndmask_b32_e32 v57, v46, v57, vcc
	ds_bpermute_b32 v75, v65, v57
	v_cndmask_b32_e32 v56, v47, v56, vcc
	ds_bpermute_b32 v77, v65, v56
	v_cndmask_b32_e32 v76, v46, v76, vcc
	v_subrev_u32_e32 v52, 64, v52
	s_waitcnt lgkmcnt(1)
	v_add_co_u32_e64 v75, s[2:3], v75, v76
	s_waitcnt lgkmcnt(0)
	v_addc_co_u32_e64 v77, s[2:3], v77, v56, s[2:3]
	v_cmp_le_u32_e64 s[2:3], v66, v49
	v_cndmask_b32_e64 v57, v57, v75, s[2:3]
	v_cndmask_b32_e64 v56, v56, v77, s[2:3]
	ds_bpermute_b32 v77, v67, v57
	v_cndmask_b32_e64 v75, v76, v75, s[2:3]
	ds_bpermute_b32 v76, v67, v56
	s_or_b64 s[2:3], vcc, s[2:3]
	s_waitcnt lgkmcnt(1)
	v_add_co_u32_e32 v77, vcc, v77, v75
	s_waitcnt lgkmcnt(0)
	v_addc_co_u32_e32 v76, vcc, v76, v56, vcc
	v_cmp_le_u32_e32 vcc, v68, v49
	v_cndmask_b32_e32 v57, v57, v77, vcc
	v_cndmask_b32_e32 v56, v56, v76, vcc
	ds_bpermute_b32 v76, v69, v57
	v_cndmask_b32_e32 v75, v75, v77, vcc
	ds_bpermute_b32 v77, v69, v56
	s_or_b64 s[2:3], vcc, s[2:3]
	s_waitcnt lgkmcnt(1)
	v_add_co_u32_e32 v76, vcc, v76, v75
	s_waitcnt lgkmcnt(0)
	v_addc_co_u32_e32 v77, vcc, v77, v56, vcc
	v_cmp_le_u32_e32 vcc, v70, v49
	v_cndmask_b32_e32 v57, v57, v76, vcc
	v_cndmask_b32_e32 v56, v56, v77, vcc
	ds_bpermute_b32 v77, v71, v57
	v_cndmask_b32_e32 v75, v75, v76, vcc
	ds_bpermute_b32 v76, v71, v56
	s_or_b64 s[2:3], vcc, s[2:3]
	s_waitcnt lgkmcnt(1)
	v_add_co_u32_e32 v77, vcc, v77, v75
	s_waitcnt lgkmcnt(0)
	v_addc_co_u32_e32 v76, vcc, v76, v56, vcc
	v_cmp_le_u32_e32 vcc, v72, v49
	v_cndmask_b32_e32 v57, v57, v77, vcc
	v_cndmask_b32_e32 v56, v56, v76, vcc
	ds_bpermute_b32 v57, v73, v57
	ds_bpermute_b32 v76, v73, v56
	s_or_b64 s[8:9], vcc, s[2:3]
	v_cndmask_b32_e32 v75, v75, v77, vcc
	v_cmp_le_u32_e32 vcc, v74, v49
	s_waitcnt lgkmcnt(1)
	v_cndmask_b32_e32 v57, 0, v57, vcc
	s_waitcnt lgkmcnt(0)
	v_cndmask_b32_e32 v49, 0, v76, vcc
	v_add_co_u32_e64 v57, s[2:3], v57, v75
	s_or_b64 vcc, vcc, s[8:9]
	v_addc_co_u32_e64 v49, s[2:3], v49, v56, s[2:3]
	v_cndmask_b32_e32 v46, v46, v57, vcc
	v_cndmask_b32_e32 v47, v47, v49, vcc
	v_add_co_u32_e32 v46, vcc, v46, v54
	v_addc_co_u32_e32 v47, vcc, v47, v55, vcc
.LBB9_60:                               ; =>This Loop Header: Depth=1
                                        ;     Child Loop BB9_63 Depth 2
	v_cmp_ne_u16_sdwa s[2:3], v48, v62 src0_sel:BYTE_0 src1_sel:DWORD
	v_cndmask_b32_e64 v48, 0, 1, s[2:3]
	;;#ASMSTART
	;;#ASMEND
	v_cmp_ne_u32_e32 vcc, 0, v48
	s_cmp_lg_u64 vcc, exec
	v_pk_mov_b32 v[54:55], v[46:47], v[46:47] op_sel:[0,1]
	s_cbranch_scc1 .LBB9_65
; %bb.61:                               ;   in Loop: Header=BB9_60 Depth=1
	v_lshlrev_b64 v[46:47], 4, v[52:53]
	v_mov_b32_e32 v48, s21
	v_add_co_u32_e32 v56, vcc, s20, v46
	v_addc_co_u32_e32 v57, vcc, v48, v47, vcc
	;;#ASMSTART
	global_load_dwordx4 v[46:49], v[56:57] off glc	
s_waitcnt vmcnt(0)
	;;#ASMEND
	v_cmp_eq_u16_sdwa s[8:9], v48, v53 src0_sel:BYTE_0 src1_sel:DWORD
	s_and_saveexec_b64 s[2:3], s[8:9]
	s_cbranch_execz .LBB9_59
; %bb.62:                               ;   in Loop: Header=BB9_60 Depth=1
	s_mov_b64 s[8:9], 0
.LBB9_63:                               ;   Parent Loop BB9_60 Depth=1
                                        ; =>  This Inner Loop Header: Depth=2
	;;#ASMSTART
	global_load_dwordx4 v[46:49], v[56:57] off glc	
s_waitcnt vmcnt(0)
	;;#ASMEND
	v_cmp_ne_u16_sdwa s[14:15], v48, v53 src0_sel:BYTE_0 src1_sel:DWORD
	s_or_b64 s[8:9], s[14:15], s[8:9]
	s_andn2_b64 exec, exec, s[8:9]
	s_cbranch_execnz .LBB9_63
; %bb.64:                               ;   in Loop: Header=BB9_60 Depth=1
	s_or_b64 exec, exec, s[8:9]
	s_branch .LBB9_59
.LBB9_65:                               ;   in Loop: Header=BB9_60 Depth=1
                                        ; implicit-def: $vgpr46_vgpr47
                                        ; implicit-def: $vgpr48
	s_cbranch_execz .LBB9_60
; %bb.66:
	s_and_saveexec_b64 s[2:3], s[0:1]
	s_cbranch_execz .LBB9_68
; %bb.67:
	s_add_i32 s0, s6, 64
	s_mov_b32 s1, 0
	s_lshl_b64 s[0:1], s[0:1], 4
	s_add_u32 s0, s20, s0
	v_add_co_u32_e32 v42, vcc, v54, v42
	s_addc_u32 s1, s21, s1
	v_addc_co_u32_e32 v43, vcc, v55, v43, vcc
	v_mov_b32_e32 v44, 2
	v_mov_b32_e32 v45, 0
	v_pk_mov_b32 v[46:47], s[0:1], s[0:1] op_sel:[0,1]
	;;#ASMSTART
	global_store_dwordx4 v[46:47], v[42:45] off	
s_waitcnt vmcnt(0)
	;;#ASMEND
.LBB9_68:
	s_or_b64 exec, exec, s[2:3]
	v_cmp_eq_u32_e32 vcc, 0, v0
	s_and_b64 exec, exec, vcc
	s_cbranch_execz .LBB9_70
; %bb.69:
	v_mov_b32_e32 v42, 0
	ds_write_b64 v42, v[54:55]
.LBB9_70:
	s_or_b64 exec, exec, s[12:13]
	v_mov_b32_e32 v42, 0
	s_waitcnt lgkmcnt(0)
	; wave barrier
	s_waitcnt lgkmcnt(0)
	ds_read_b64 v[42:43], v42
	v_cmp_ne_u32_e32 vcc, 0, v0
	v_cndmask_b32_e32 v1, 0, v1, vcc
	v_cndmask_b32_e32 v44, 0, v61, vcc
	v_add_co_u32_e32 v1, vcc, v1, v34
	v_addc_co_u32_e32 v44, vcc, v44, v35, vcc
	s_waitcnt lgkmcnt(0)
	v_add_co_u32_e32 v42, vcc, v1, v42
	v_addc_co_u32_e32 v43, vcc, v44, v43, vcc
	s_load_dwordx4 s[12:15], s[4:5], 0x38
	s_branch .LBB9_81
.LBB9_71:
                                        ; implicit-def: $vgpr42_vgpr43
	s_load_dwordx4 s[12:15], s[4:5], 0x38
	s_cbranch_execz .LBB9_81
; %bb.72:
	s_load_dword s0, s[4:5], 0x48
	v_cmp_eq_u32_e32 vcc, 0, v0
	s_waitcnt lgkmcnt(0)
	s_bitcmp1_b32 s0, 0
	s_cselect_b64 s[0:1], -1, 0
	s_and_b64 s[0:1], vcc, s[0:1]
	s_and_saveexec_b64 s[2:3], s[0:1]
	s_cbranch_execz .LBB9_74
; %bb.73:
	s_load_dwordx2 s[0:1], s[12:13], 0x0
	s_waitcnt lgkmcnt(0)
	v_mov_b32_e32 v1, s1
	v_add_co_u32_e64 v34, s[0:1], s0, v34
	v_addc_co_u32_e64 v35, s[0:1], v1, v35, s[0:1]
.LBB9_74:
	s_or_b64 exec, exec, s[2:3]
	v_add_co_u32_e64 v1, s[0:1], v38, v36
	v_addc_co_u32_e64 v42, s[0:1], v39, v37, s[0:1]
	v_add_co_u32_e64 v1, s[0:1], v1, v40
	v_addc_co_u32_e64 v42, s[0:1], v42, v41, s[0:1]
	;; [unrolled: 2-line block ×20, first 2 shown]
	s_nop 0
	v_mov_b32_dpp v44, v42 row_shr:1 row_mask:0xf bank_mask:0xf
	v_add_co_u32_e64 v44, s[0:1], v42, v44
	v_addc_co_u32_e64 v47, s[0:1], 0, v43, s[0:1]
	v_mbcnt_hi_u32_b32 v45, -1, v60
	v_mov_b32_dpp v46, v43 row_shr:1 row_mask:0xf bank_mask:0xf
	v_add_co_u32_e64 v48, s[0:1], 0, v44
	v_and_b32_e32 v1, 15, v45
	v_addc_co_u32_e64 v46, s[0:1], v47, v46, s[0:1]
	v_cmp_eq_u32_e64 s[0:1], 0, v1
	v_cndmask_b32_e64 v44, v44, v42, s[0:1]
	v_cndmask_b32_e64 v46, v46, v43, s[0:1]
	v_cndmask_b32_e64 v47, v48, v42, s[0:1]
	v_mov_b32_dpp v48, v44 row_shr:2 row_mask:0xf bank_mask:0xf
	v_mov_b32_dpp v49, v46 row_shr:2 row_mask:0xf bank_mask:0xf
	v_add_co_u32_e64 v48, s[0:1], v48, v47
	v_addc_co_u32_e64 v49, s[0:1], v49, v46, s[0:1]
	v_cmp_lt_u32_e64 s[0:1], 1, v1
	v_cndmask_b32_e64 v44, v44, v48, s[0:1]
	v_cndmask_b32_e64 v46, v46, v49, s[0:1]
	v_cndmask_b32_e64 v47, v47, v48, s[0:1]
	v_mov_b32_dpp v48, v44 row_shr:4 row_mask:0xf bank_mask:0xf
	v_mov_b32_dpp v49, v46 row_shr:4 row_mask:0xf bank_mask:0xf
	v_add_co_u32_e64 v48, s[0:1], v48, v47
	v_addc_co_u32_e64 v49, s[0:1], v49, v46, s[0:1]
	v_cmp_lt_u32_e64 s[0:1], 3, v1
	;; [unrolled: 8-line block ×3, first 2 shown]
	v_cndmask_b32_e64 v52, v44, v48, s[0:1]
	v_cndmask_b32_e64 v1, v46, v49, s[0:1]
	;; [unrolled: 1-line block ×3, first 2 shown]
	v_mov_b32_dpp v46, v52 row_bcast:15 row_mask:0xf bank_mask:0xf
	v_mov_b32_dpp v47, v1 row_bcast:15 row_mask:0xf bank_mask:0xf
	v_add_co_u32_e64 v46, s[0:1], v46, v44
	v_and_b32_e32 v49, 16, v45
	v_addc_co_u32_e64 v48, s[0:1], v47, v1, s[0:1]
	v_cmp_eq_u32_e64 s[0:1], 0, v49
	v_cndmask_b32_e64 v49, v48, v1, s[0:1]
	v_cndmask_b32_e64 v47, v46, v52, s[0:1]
	v_cmp_ne_u32_e64 s[2:3], 0, v45
	v_mov_b32_dpp v49, v49 row_bcast:31 row_mask:0xf bank_mask:0xf
	v_mov_b32_dpp v47, v47 row_bcast:31 row_mask:0xf bank_mask:0xf
	s_and_saveexec_b64 s[6:7], s[2:3]
; %bb.75:
	v_cndmask_b32_e64 v1, v48, v1, s[0:1]
	v_cndmask_b32_e64 v42, v46, v44, s[0:1]
	v_cmp_lt_u32_e64 s[0:1], 31, v45
	v_cndmask_b32_e64 v44, 0, v47, s[0:1]
	v_cndmask_b32_e64 v43, 0, v49, s[0:1]
	v_add_co_u32_e64 v42, s[0:1], v42, v44
	v_addc_co_u32_e64 v43, s[0:1], v1, v43, s[0:1]
; %bb.76:
	s_or_b64 exec, exec, s[6:7]
	v_cmp_eq_u32_e64 s[0:1], 63, v0
	s_and_saveexec_b64 s[2:3], s[0:1]
	s_cbranch_execz .LBB9_78
; %bb.77:
	v_mov_b32_e32 v1, 0
	ds_write_b64 v1, v[42:43]
.LBB9_78:
	s_or_b64 exec, exec, s[2:3]
	v_add_u32_e32 v1, -1, v45
	v_and_b32_e32 v44, 64, v45
	v_cmp_lt_i32_e64 s[0:1], v1, v44
	v_cndmask_b32_e64 v1, v1, v45, s[0:1]
	v_lshlrev_b32_e32 v1, 2, v1
	ds_bpermute_b32 v43, v1, v43
	ds_bpermute_b32 v1, v1, v42
	s_waitcnt lgkmcnt(0)
	; wave barrier
	s_waitcnt lgkmcnt(0)
	v_cndmask_b32_e64 v43, v43, 0, vcc
	v_cndmask_b32_e64 v1, v1, 0, vcc
	v_add_co_u32_e64 v42, s[0:1], v1, v34
	v_addc_co_u32_e64 v43, s[0:1], v43, v35, s[0:1]
	s_and_saveexec_b64 s[0:1], vcc
	s_cbranch_execz .LBB9_80
; %bb.79:
	s_add_u32 s2, s20, 0x400
	v_mov_b32_e32 v47, 0
	s_addc_u32 s3, s21, 0
	ds_read_b64 v[44:45], v47
	v_mov_b32_e32 v46, 2
	v_pk_mov_b32 v[34:35], s[2:3], s[2:3] op_sel:[0,1]
	s_waitcnt lgkmcnt(0)
	;;#ASMSTART
	global_store_dwordx4 v[34:35], v[44:47] off	
s_waitcnt vmcnt(0)
	;;#ASMEND
.LBB9_80:
	s_or_b64 exec, exec, s[0:1]
.LBB9_81:
	v_add_co_u32_e32 v44, vcc, v42, v36
	v_addc_co_u32_e32 v45, vcc, v43, v37, vcc
	v_add_co_u32_e32 v34, vcc, v44, v38
	v_addc_co_u32_e32 v35, vcc, v45, v39, vcc
	;; [unrolled: 2-line block ×20, first 2 shown]
	s_add_u32 s0, s10, s18
	s_addc_u32 s1, s11, s19
	s_mov_b64 s[2:3], -1
	s_and_b64 vcc, exec, s[16:17]
	s_waitcnt lgkmcnt(0)
	; wave barrier
	s_waitcnt lgkmcnt(0)
	s_cbranch_vccz .LBB9_83
; %bb.82:
	v_mul_u32_u24_e32 v1, 0xa8, v0
	s_movk_i32 s2, 0xa8
	ds_write2_b64 v1, v[42:43], v[44:45] offset1:1
	ds_write2_b64 v1, v[34:35], v[38:39] offset0:2 offset1:3
	ds_write2_b64 v1, v[30:31], v[36:37] offset0:4 offset1:5
	;; [unrolled: 1-line block ×9, first 2 shown]
	ds_write_b64 v1, v[8:9] offset:160
	v_mul_i32_i24_e32 v1, 0xffffff60, v0
	v_mad_u32_u24 v1, v0, s2, v1
	s_waitcnt lgkmcnt(0)
	; wave barrier
	s_waitcnt lgkmcnt(0)
	ds_read2st64_b64 v[46:49], v1 offset1:1
	ds_read2st64_b64 v[50:53], v1 offset0:2 offset1:3
	ds_read2st64_b64 v[54:57], v1 offset0:4 offset1:5
	;; [unrolled: 1-line block ×9, first 2 shown]
	ds_read_b64 v[40:41], v1 offset:10240
	v_mov_b32_e32 v1, s1
	v_add_co_u32_e32 v88, vcc, s0, v58
	v_addc_co_u32_e32 v1, vcc, 0, v1, vcc
	s_movk_i32 s2, 0x1000
	s_waitcnt lgkmcnt(10)
	global_store_dwordx2 v58, v[46:47], s[0:1]
	global_store_dwordx2 v58, v[48:49], s[0:1] offset:512
	s_waitcnt lgkmcnt(9)
	global_store_dwordx2 v58, v[50:51], s[0:1] offset:1024
	global_store_dwordx2 v58, v[52:53], s[0:1] offset:1536
	s_waitcnt lgkmcnt(8)
	global_store_dwordx2 v58, v[54:55], s[0:1] offset:2048
	;; [unrolled: 3-line block ×3, first 2 shown]
	global_store_dwordx2 v58, v[62:63], s[0:1] offset:3584
	v_add_co_u32_e32 v46, vcc, s2, v88
	v_addc_co_u32_e32 v47, vcc, 0, v1, vcc
	s_waitcnt lgkmcnt(6)
	global_store_dwordx2 v[46:47], v[64:65], off
	global_store_dwordx2 v[46:47], v[66:67], off offset:512
	s_waitcnt lgkmcnt(5)
	global_store_dwordx2 v[46:47], v[68:69], off offset:1024
	global_store_dwordx2 v[46:47], v[70:71], off offset:1536
	s_waitcnt lgkmcnt(4)
	global_store_dwordx2 v[46:47], v[72:73], off offset:2048
	;; [unrolled: 3-line block ×3, first 2 shown]
	global_store_dwordx2 v[46:47], v[78:79], off offset:3584
	v_add_co_u32_e32 v46, vcc, 0x2000, v88
	v_addc_co_u32_e32 v47, vcc, 0, v1, vcc
	s_waitcnt lgkmcnt(2)
	global_store_dwordx2 v[46:47], v[80:81], off
	global_store_dwordx2 v[46:47], v[82:83], off offset:512
	s_waitcnt lgkmcnt(1)
	global_store_dwordx2 v[46:47], v[84:85], off offset:1024
	global_store_dwordx2 v[46:47], v[86:87], off offset:1536
	s_waitcnt lgkmcnt(0)
	global_store_dwordx2 v[46:47], v[40:41], off offset:2048
	s_mov_b64 s[2:3], 0
.LBB9_83:
	s_andn2_b64 vcc, exec, s[2:3]
	s_cbranch_vccnz .LBB9_204
; %bb.84:
	v_mul_u32_u24_e32 v1, 0xa8, v0
	s_movk_i32 s2, 0xa8
	ds_write2_b64 v1, v[42:43], v[44:45] offset1:1
	ds_write2_b64 v1, v[34:35], v[38:39] offset0:2 offset1:3
	ds_write2_b64 v1, v[30:31], v[36:37] offset0:4 offset1:5
	;; [unrolled: 1-line block ×9, first 2 shown]
	ds_write_b64 v1, v[8:9] offset:160
	v_mul_i32_i24_e32 v2, 0xffffff60, v0
	v_mad_u32_u24 v42, v0, s2, v2
	s_waitcnt lgkmcnt(0)
	; wave barrier
	s_waitcnt lgkmcnt(0)
	ds_read2st64_b64 v[6:9], v42 offset1:1
	ds_read2st64_b64 v[10:13], v42 offset0:2 offset1:3
	ds_read2st64_b64 v[14:17], v42 offset0:4 offset1:5
	;; [unrolled: 1-line block ×9, first 2 shown]
	ds_read_b64 v[42:43], v42 offset:10240
	v_mov_b32_e32 v45, s1
	v_add_co_u32_e32 v44, vcc, s0, v58
	v_addc_co_u32_e32 v45, vcc, 0, v45, vcc
	v_mov_b32_e32 v1, 0
	v_cmp_gt_u32_e32 vcc, s22, v0
	s_and_saveexec_b64 s[0:1], vcc
	s_cbranch_execz .LBB9_86
; %bb.85:
	s_waitcnt lgkmcnt(10)
	global_store_dwordx2 v[44:45], v[6:7], off
.LBB9_86:
	s_or_b64 exec, exec, s[0:1]
	v_or_b32_e32 v46, 64, v0
	v_cmp_gt_u32_e32 vcc, s22, v46
	s_and_saveexec_b64 s[0:1], vcc
	s_cbranch_execz .LBB9_88
; %bb.87:
	s_waitcnt lgkmcnt(10)
	global_store_dwordx2 v[44:45], v[8:9], off offset:512
.LBB9_88:
	s_or_b64 exec, exec, s[0:1]
	v_or_b32_e32 v46, 0x80, v0
	v_cmp_gt_u32_e32 vcc, s22, v46
	s_and_saveexec_b64 s[0:1], vcc
	s_cbranch_execz .LBB9_90
; %bb.89:
	s_waitcnt lgkmcnt(9)
	global_store_dwordx2 v[44:45], v[10:11], off offset:1024
.LBB9_90:
	;; [unrolled: 9-line block ×7, first 2 shown]
	s_or_b64 exec, exec, s[0:1]
	v_or_b32_e32 v46, 0x200, v0
	v_cmp_gt_u32_e32 vcc, s22, v46
	s_and_saveexec_b64 s[0:1], vcc
	s_cbranch_execz .LBB9_102
; %bb.101:
	v_add_co_u32_e32 v46, vcc, 0x1000, v44
	v_addc_co_u32_e32 v47, vcc, 0, v45, vcc
	s_waitcnt lgkmcnt(6)
	global_store_dwordx2 v[46:47], v[18:19], off
.LBB9_102:
	s_or_b64 exec, exec, s[0:1]
	v_or_b32_e32 v46, 0x240, v0
	v_cmp_gt_u32_e32 vcc, s22, v46
	s_and_saveexec_b64 s[0:1], vcc
	s_cbranch_execz .LBB9_104
; %bb.103:
	v_add_co_u32_e32 v46, vcc, 0x1000, v44
	v_addc_co_u32_e32 v47, vcc, 0, v45, vcc
	s_waitcnt lgkmcnt(6)
	global_store_dwordx2 v[46:47], v[20:21], off offset:512
.LBB9_104:
	s_or_b64 exec, exec, s[0:1]
	v_or_b32_e32 v46, 0x280, v0
	v_cmp_gt_u32_e32 vcc, s22, v46
	s_and_saveexec_b64 s[0:1], vcc
	s_cbranch_execz .LBB9_106
; %bb.105:
	v_add_co_u32_e32 v46, vcc, 0x1000, v44
	v_addc_co_u32_e32 v47, vcc, 0, v45, vcc
	s_waitcnt lgkmcnt(5)
	global_store_dwordx2 v[46:47], v[2:3], off offset:1024
.LBB9_106:
	;; [unrolled: 11-line block ×7, first 2 shown]
	s_or_b64 exec, exec, s[0:1]
	v_or_b32_e32 v46, 0x400, v0
	v_cmp_gt_u32_e32 vcc, s22, v46
	s_and_saveexec_b64 s[0:1], vcc
	s_cbranch_execz .LBB9_118
; %bb.117:
	v_add_co_u32_e32 v46, vcc, 0x2000, v44
	v_addc_co_u32_e32 v47, vcc, 0, v45, vcc
	s_waitcnt lgkmcnt(2)
	global_store_dwordx2 v[46:47], v[38:39], off
.LBB9_118:
	s_or_b64 exec, exec, s[0:1]
	v_or_b32_e32 v46, 0x440, v0
	v_cmp_gt_u32_e32 vcc, s22, v46
	s_and_saveexec_b64 s[0:1], vcc
	s_cbranch_execz .LBB9_120
; %bb.119:
	v_add_co_u32_e32 v46, vcc, 0x2000, v44
	v_addc_co_u32_e32 v47, vcc, 0, v45, vcc
	s_waitcnt lgkmcnt(2)
	global_store_dwordx2 v[46:47], v[40:41], off offset:512
.LBB9_120:
	s_or_b64 exec, exec, s[0:1]
	v_or_b32_e32 v46, 0x480, v0
	v_cmp_gt_u32_e32 vcc, s22, v46
	s_and_saveexec_b64 s[0:1], vcc
	s_cbranch_execz .LBB9_122
; %bb.121:
	v_add_co_u32_e32 v46, vcc, 0x2000, v44
	v_addc_co_u32_e32 v47, vcc, 0, v45, vcc
	s_waitcnt lgkmcnt(1)
	global_store_dwordx2 v[46:47], v[34:35], off offset:1024
.LBB9_122:
	;; [unrolled: 11-line block ×4, first 2 shown]
	s_or_b64 exec, exec, s[0:1]
	s_load_dword s0, s[4:5], 0x48
	s_waitcnt lgkmcnt(0)
	s_bfe_u32 s0, s0, 0x10008
	s_cmp_eq_u32 s0, 0
	s_cbranch_scc1 .LBB9_204
; %bb.127:
	s_add_u32 s0, s22, -1
	s_addc_u32 s1, s23, -1
	s_add_u32 s2, 0, 0x30c26c00
	s_addc_u32 s3, 0, 44
	s_add_i32 s3, s3, 0xc30c2e0
	s_mul_hi_u32 s7, s2, 0xffffffeb
	s_sub_i32 s7, s7, s2
	s_mul_i32 s8, s3, 0xffffffeb
	s_mul_i32 s4, s2, 0xffffffeb
	s_add_i32 s7, s7, s8
	s_mul_hi_u32 s5, s3, s4
	s_mul_i32 s6, s3, s4
	s_mul_i32 s9, s2, s7
	s_mul_hi_u32 s4, s2, s4
	s_mul_hi_u32 s8, s2, s7
	s_add_u32 s4, s4, s9
	s_addc_u32 s8, 0, s8
	s_add_u32 s4, s4, s6
	s_mul_hi_u32 s9, s3, s7
	s_addc_u32 s4, s8, s5
	s_addc_u32 s5, s9, 0
	s_mul_i32 s6, s3, s7
	s_add_u32 s4, s4, s6
	v_mov_b32_e32 v44, s4
	s_addc_u32 s5, 0, s5
	v_add_co_u32_e32 v44, vcc, s2, v44
	s_cmp_lg_u64 vcc, 0
	s_addc_u32 s2, s3, s5
	v_readfirstlane_b32 s5, v44
	s_mul_i32 s4, s0, s2
	s_mul_hi_u32 s6, s0, s5
	s_mul_hi_u32 s3, s0, s2
	s_add_u32 s4, s6, s4
	s_addc_u32 s3, 0, s3
	s_mul_hi_u32 s7, s1, s5
	s_mul_i32 s5, s1, s5
	s_add_u32 s4, s4, s5
	s_mul_hi_u32 s6, s1, s2
	s_addc_u32 s3, s3, s7
	s_addc_u32 s4, s6, 0
	s_mul_i32 s2, s1, s2
	s_add_u32 s2, s3, s2
	s_addc_u32 s3, 0, s4
	s_add_u32 s4, s2, 1
	s_addc_u32 s5, s3, 0
	s_add_u32 s6, s2, 2
	s_mul_i32 s8, s3, 21
	s_mul_hi_u32 s9, s2, 21
	s_addc_u32 s7, s3, 0
	s_add_i32 s9, s9, s8
	s_mul_i32 s8, s2, 21
	v_mov_b32_e32 v44, s8
	v_sub_co_u32_e32 v44, vcc, s0, v44
	s_cmp_lg_u64 vcc, 0
	s_subb_u32 s8, s1, s9
	v_subrev_co_u32_e32 v45, vcc, 21, v44
	s_cmp_lg_u64 vcc, 0
	s_subb_u32 s9, s8, 0
	v_readfirstlane_b32 s10, v45
	s_cmp_gt_u32 s10, 20
	s_cselect_b32 s10, -1, 0
	s_cmp_eq_u32 s9, 0
	s_cselect_b32 s9, s10, -1
	s_cmp_lg_u32 s9, 0
	s_cselect_b32 s4, s6, s4
	v_readfirstlane_b32 s6, v44
	s_cselect_b32 s5, s7, s5
	s_cmp_gt_u32 s6, 20
	s_cselect_b32 s6, -1, 0
	s_cmp_eq_u32 s8, 0
	s_cselect_b32 s6, s6, -1
	s_cmp_lg_u32 s6, 0
	s_cselect_b32 s3, s5, s3
	s_cselect_b32 s2, s4, s2
	v_cmp_eq_u64_e32 vcc, s[2:3], v[0:1]
	s_and_saveexec_b64 s[2:3], vcc
	s_cbranch_execz .LBB9_204
; %bb.128:
	v_mul_hi_u32_u24_e32 v1, 21, v0
	v_mov_b32_e32 v44, s1
	v_sub_co_u32_e32 v0, vcc, s0, v59
	v_subb_co_u32_e32 v1, vcc, v44, v1, vcc
	v_cmp_lt_i64_e32 vcc, 10, v[0:1]
	s_and_saveexec_b64 s[0:1], vcc
	s_xor_b64 s[0:1], exec, s[0:1]
	s_cbranch_execz .LBB9_166
; %bb.129:
	v_cmp_lt_i64_e32 vcc, 15, v[0:1]
	s_and_saveexec_b64 s[2:3], vcc
	s_xor_b64 s[2:3], exec, s[2:3]
	s_cbranch_execz .LBB9_147
; %bb.130:
	;; [unrolled: 5-line block ×5, first 2 shown]
	v_mov_b32_e32 v0, 0
	global_store_dwordx2 v0, v[42:43], s[14:15]
                                        ; implicit-def: $vgpr34_vgpr35_vgpr36_vgpr37
.LBB9_134:
	s_andn2_saveexec_b64 s[8:9], s[8:9]
	s_cbranch_execz .LBB9_136
; %bb.135:
	v_mov_b32_e32 v0, 0
	global_store_dwordx2 v0, v[36:37], s[14:15]
.LBB9_136:
	s_or_b64 exec, exec, s[8:9]
                                        ; implicit-def: $vgpr34_vgpr35_vgpr36_vgpr37
.LBB9_137:
	s_andn2_saveexec_b64 s[6:7], s[6:7]
	s_cbranch_execz .LBB9_139
; %bb.138:
	v_mov_b32_e32 v0, 0
	global_store_dwordx2 v0, v[34:35], s[14:15]
.LBB9_139:
	s_or_b64 exec, exec, s[6:7]
                                        ; implicit-def: $vgpr38_vgpr39_vgpr40_vgpr41
                                        ; implicit-def: $vgpr0_vgpr1
.LBB9_140:
	s_andn2_saveexec_b64 s[4:5], s[4:5]
	s_cbranch_execz .LBB9_146
; %bb.141:
	v_cmp_lt_i64_e32 vcc, 16, v[0:1]
	s_and_saveexec_b64 s[6:7], vcc
	s_xor_b64 s[6:7], exec, s[6:7]
	s_cbranch_execz .LBB9_143
; %bb.142:
	v_mov_b32_e32 v0, 0
	global_store_dwordx2 v0, v[40:41], s[14:15]
                                        ; implicit-def: $vgpr38_vgpr39_vgpr40_vgpr41
.LBB9_143:
	s_andn2_saveexec_b64 s[6:7], s[6:7]
	s_cbranch_execz .LBB9_145
; %bb.144:
	v_mov_b32_e32 v0, 0
	global_store_dwordx2 v0, v[38:39], s[14:15]
.LBB9_145:
	s_or_b64 exec, exec, s[6:7]
.LBB9_146:
	s_or_b64 exec, exec, s[4:5]
                                        ; implicit-def: $vgpr0_vgpr1
                                        ; implicit-def: $vgpr2_vgpr3_vgpr4_vgpr5
                                        ; implicit-def: $vgpr22_vgpr23_vgpr24_vgpr25
                                        ; implicit-def: $vgpr30_vgpr31_vgpr32_vgpr33
.LBB9_147:
	s_andn2_saveexec_b64 s[2:3], s[2:3]
	s_cbranch_execz .LBB9_165
; %bb.148:
	v_cmp_lt_i64_e32 vcc, 12, v[0:1]
	s_and_saveexec_b64 s[4:5], vcc
	s_xor_b64 s[4:5], exec, s[4:5]
	s_cbranch_execz .LBB9_158
; %bb.149:
	v_cmp_lt_i64_e32 vcc, 13, v[0:1]
	s_and_saveexec_b64 s[6:7], vcc
	s_xor_b64 s[6:7], exec, s[6:7]
	s_cbranch_execz .LBB9_155
; %bb.150:
	v_cmp_lt_i64_e32 vcc, 14, v[0:1]
	s_and_saveexec_b64 s[8:9], vcc
	s_xor_b64 s[8:9], exec, s[8:9]
	s_cbranch_execz .LBB9_152
; %bb.151:
	v_mov_b32_e32 v0, 0
	global_store_dwordx2 v0, v[32:33], s[14:15]
                                        ; implicit-def: $vgpr30_vgpr31_vgpr32_vgpr33
.LBB9_152:
	s_andn2_saveexec_b64 s[8:9], s[8:9]
	s_cbranch_execz .LBB9_154
; %bb.153:
	v_mov_b32_e32 v0, 0
	global_store_dwordx2 v0, v[30:31], s[14:15]
.LBB9_154:
	s_or_b64 exec, exec, s[8:9]
                                        ; implicit-def: $vgpr22_vgpr23_vgpr24_vgpr25
.LBB9_155:
	s_andn2_saveexec_b64 s[6:7], s[6:7]
	s_cbranch_execz .LBB9_157
; %bb.156:
	v_mov_b32_e32 v0, 0
	global_store_dwordx2 v0, v[24:25], s[14:15]
.LBB9_157:
	s_or_b64 exec, exec, s[6:7]
                                        ; implicit-def: $vgpr2_vgpr3_vgpr4_vgpr5
                                        ; implicit-def: $vgpr0_vgpr1
                                        ; implicit-def: $vgpr22_vgpr23_vgpr24_vgpr25
.LBB9_158:
	s_andn2_saveexec_b64 s[4:5], s[4:5]
	s_cbranch_execz .LBB9_164
; %bb.159:
	v_cmp_lt_i64_e32 vcc, 11, v[0:1]
	s_and_saveexec_b64 s[6:7], vcc
	s_xor_b64 s[6:7], exec, s[6:7]
	s_cbranch_execz .LBB9_161
; %bb.160:
	v_mov_b32_e32 v0, 0
	global_store_dwordx2 v0, v[22:23], s[14:15]
                                        ; implicit-def: $vgpr2_vgpr3_vgpr4_vgpr5
.LBB9_161:
	s_andn2_saveexec_b64 s[6:7], s[6:7]
	s_cbranch_execz .LBB9_163
; %bb.162:
	v_mov_b32_e32 v0, 0
	global_store_dwordx2 v0, v[4:5], s[14:15]
.LBB9_163:
	s_or_b64 exec, exec, s[6:7]
.LBB9_164:
	s_or_b64 exec, exec, s[4:5]
.LBB9_165:
	s_or_b64 exec, exec, s[2:3]
                                        ; implicit-def: $vgpr0_vgpr1
                                        ; implicit-def: $vgpr26_vgpr27_vgpr28_vgpr29
                                        ; implicit-def: $vgpr10_vgpr11_vgpr12_vgpr13
                                        ; implicit-def: $vgpr6_vgpr7_vgpr8_vgpr9
                                        ; implicit-def: $vgpr18_vgpr19_vgpr20_vgpr21
                                        ; implicit-def: $vgpr14_vgpr15_vgpr16_vgpr17
                                        ; implicit-def: $vgpr2_vgpr3_vgpr4_vgpr5
.LBB9_166:
	s_andn2_saveexec_b64 s[0:1], s[0:1]
	s_cbranch_execz .LBB9_204
; %bb.167:
	v_cmp_lt_i64_e32 vcc, 5, v[0:1]
	s_and_saveexec_b64 s[0:1], vcc
	s_xor_b64 s[0:1], exec, s[0:1]
	s_cbranch_execz .LBB9_185
; %bb.168:
	v_cmp_lt_i64_e32 vcc, 7, v[0:1]
	s_and_saveexec_b64 s[2:3], vcc
	s_xor_b64 s[2:3], exec, s[2:3]
	;; [unrolled: 5-line block ×4, first 2 shown]
	s_cbranch_execz .LBB9_172
; %bb.171:
	v_mov_b32_e32 v0, 0
	global_store_dwordx2 v0, v[2:3], s[14:15]
                                        ; implicit-def: $vgpr18_vgpr19_vgpr20_vgpr21
.LBB9_172:
	s_andn2_saveexec_b64 s[6:7], s[6:7]
	s_cbranch_execz .LBB9_174
; %bb.173:
	v_mov_b32_e32 v0, 0
	global_store_dwordx2 v0, v[20:21], s[14:15]
.LBB9_174:
	s_or_b64 exec, exec, s[6:7]
                                        ; implicit-def: $vgpr18_vgpr19_vgpr20_vgpr21
.LBB9_175:
	s_andn2_saveexec_b64 s[4:5], s[4:5]
	s_cbranch_execz .LBB9_177
; %bb.176:
	v_mov_b32_e32 v0, 0
	global_store_dwordx2 v0, v[18:19], s[14:15]
.LBB9_177:
	s_or_b64 exec, exec, s[4:5]
                                        ; implicit-def: $vgpr26_vgpr27_vgpr28_vgpr29
                                        ; implicit-def: $vgpr0_vgpr1
.LBB9_178:
	s_andn2_saveexec_b64 s[2:3], s[2:3]
	s_cbranch_execz .LBB9_184
; %bb.179:
	v_cmp_lt_i64_e32 vcc, 6, v[0:1]
	s_and_saveexec_b64 s[4:5], vcc
	s_xor_b64 s[4:5], exec, s[4:5]
	s_cbranch_execz .LBB9_181
; %bb.180:
	v_mov_b32_e32 v0, 0
	global_store_dwordx2 v0, v[28:29], s[14:15]
                                        ; implicit-def: $vgpr26_vgpr27_vgpr28_vgpr29
.LBB9_181:
	s_andn2_saveexec_b64 s[4:5], s[4:5]
	s_cbranch_execz .LBB9_183
; %bb.182:
	v_mov_b32_e32 v0, 0
	global_store_dwordx2 v0, v[26:27], s[14:15]
.LBB9_183:
	s_or_b64 exec, exec, s[4:5]
.LBB9_184:
	s_or_b64 exec, exec, s[2:3]
                                        ; implicit-def: $vgpr0_vgpr1
                                        ; implicit-def: $vgpr10_vgpr11_vgpr12_vgpr13
                                        ; implicit-def: $vgpr6_vgpr7_vgpr8_vgpr9
                                        ; implicit-def: $vgpr14_vgpr15_vgpr16_vgpr17
.LBB9_185:
	s_andn2_saveexec_b64 s[0:1], s[0:1]
	s_cbranch_execz .LBB9_204
; %bb.186:
	v_cmp_lt_i64_e32 vcc, 2, v[0:1]
	s_and_saveexec_b64 s[0:1], vcc
	s_xor_b64 s[0:1], exec, s[0:1]
	s_cbranch_execz .LBB9_196
; %bb.187:
	v_cmp_lt_i64_e32 vcc, 3, v[0:1]
	s_and_saveexec_b64 s[2:3], vcc
	s_xor_b64 s[2:3], exec, s[2:3]
	;; [unrolled: 5-line block ×3, first 2 shown]
	s_cbranch_execz .LBB9_190
; %bb.189:
	v_mov_b32_e32 v0, 0
	global_store_dwordx2 v0, v[16:17], s[14:15]
                                        ; implicit-def: $vgpr14_vgpr15_vgpr16_vgpr17
.LBB9_190:
	s_andn2_saveexec_b64 s[4:5], s[4:5]
	s_cbranch_execz .LBB9_192
; %bb.191:
	v_mov_b32_e32 v0, 0
	global_store_dwordx2 v0, v[14:15], s[14:15]
.LBB9_192:
	s_or_b64 exec, exec, s[4:5]
                                        ; implicit-def: $vgpr10_vgpr11_vgpr12_vgpr13
.LBB9_193:
	s_andn2_saveexec_b64 s[2:3], s[2:3]
	s_cbranch_execz .LBB9_195
; %bb.194:
	v_mov_b32_e32 v0, 0
	global_store_dwordx2 v0, v[12:13], s[14:15]
.LBB9_195:
	s_or_b64 exec, exec, s[2:3]
                                        ; implicit-def: $vgpr0_vgpr1
                                        ; implicit-def: $vgpr10_vgpr11_vgpr12_vgpr13
                                        ; implicit-def: $vgpr6_vgpr7_vgpr8_vgpr9
.LBB9_196:
	s_andn2_saveexec_b64 s[0:1], s[0:1]
	s_cbranch_execz .LBB9_204
; %bb.197:
	v_cmp_lt_i64_e32 vcc, 1, v[0:1]
	s_and_saveexec_b64 s[0:1], vcc
	s_xor_b64 s[0:1], exec, s[0:1]
	s_cbranch_execz .LBB9_199
; %bb.198:
	v_mov_b32_e32 v0, 0
	global_store_dwordx2 v0, v[10:11], s[14:15]
                                        ; implicit-def: $vgpr6_vgpr7_vgpr8_vgpr9
                                        ; implicit-def: $vgpr0_vgpr1
.LBB9_199:
	s_andn2_saveexec_b64 s[0:1], s[0:1]
	s_cbranch_execz .LBB9_204
; %bb.200:
	v_cmp_ne_u64_e32 vcc, 1, v[0:1]
	s_and_saveexec_b64 s[0:1], vcc
	s_xor_b64 s[0:1], exec, s[0:1]
	s_cbranch_execz .LBB9_202
; %bb.201:
	v_mov_b32_e32 v0, 0
	global_store_dwordx2 v0, v[6:7], s[14:15]
                                        ; implicit-def: $vgpr6_vgpr7_vgpr8_vgpr9
.LBB9_202:
	s_andn2_saveexec_b64 s[0:1], s[0:1]
	s_cbranch_execz .LBB9_204
; %bb.203:
	v_mov_b32_e32 v0, 0
	global_store_dwordx2 v0, v[8:9], s[14:15]
.LBB9_204:
	s_endpgm
	.section	.rodata,"a",@progbits
	.p2align	6, 0x0
	.amdhsa_kernel _ZN7rocprim17ROCPRIM_304000_NS6detail20lookback_scan_kernelILNS1_25lookback_scan_determinismE0ELb0ENS1_19wrapped_scan_configINS0_14default_configElEEPKlPlSt4plusIvEllNS1_19lookback_scan_stateIlLb0ELb1EEEEEvT2_T3_mT5_T4_T7_jPT6_SK_bb
		.amdhsa_group_segment_fixed_size 10752
		.amdhsa_private_segment_fixed_size 0
		.amdhsa_kernarg_size 76
		.amdhsa_user_sgpr_count 6
		.amdhsa_user_sgpr_private_segment_buffer 1
		.amdhsa_user_sgpr_dispatch_ptr 0
		.amdhsa_user_sgpr_queue_ptr 0
		.amdhsa_user_sgpr_kernarg_segment_ptr 1
		.amdhsa_user_sgpr_dispatch_id 0
		.amdhsa_user_sgpr_flat_scratch_init 0
		.amdhsa_user_sgpr_kernarg_preload_length 0
		.amdhsa_user_sgpr_kernarg_preload_offset 0
		.amdhsa_user_sgpr_private_segment_size 0
		.amdhsa_uses_dynamic_stack 0
		.amdhsa_system_sgpr_private_segment_wavefront_offset 0
		.amdhsa_system_sgpr_workgroup_id_x 1
		.amdhsa_system_sgpr_workgroup_id_y 0
		.amdhsa_system_sgpr_workgroup_id_z 0
		.amdhsa_system_sgpr_workgroup_info 0
		.amdhsa_system_vgpr_workitem_id 0
		.amdhsa_next_free_vgpr 89
		.amdhsa_next_free_sgpr 24
		.amdhsa_accum_offset 92
		.amdhsa_reserve_vcc 1
		.amdhsa_reserve_flat_scratch 0
		.amdhsa_float_round_mode_32 0
		.amdhsa_float_round_mode_16_64 0
		.amdhsa_float_denorm_mode_32 3
		.amdhsa_float_denorm_mode_16_64 3
		.amdhsa_dx10_clamp 1
		.amdhsa_ieee_mode 1
		.amdhsa_fp16_overflow 0
		.amdhsa_tg_split 0
		.amdhsa_exception_fp_ieee_invalid_op 0
		.amdhsa_exception_fp_denorm_src 0
		.amdhsa_exception_fp_ieee_div_zero 0
		.amdhsa_exception_fp_ieee_overflow 0
		.amdhsa_exception_fp_ieee_underflow 0
		.amdhsa_exception_fp_ieee_inexact 0
		.amdhsa_exception_int_div_zero 0
	.end_amdhsa_kernel
	.section	.text._ZN7rocprim17ROCPRIM_304000_NS6detail20lookback_scan_kernelILNS1_25lookback_scan_determinismE0ELb0ENS1_19wrapped_scan_configINS0_14default_configElEEPKlPlSt4plusIvEllNS1_19lookback_scan_stateIlLb0ELb1EEEEEvT2_T3_mT5_T4_T7_jPT6_SK_bb,"axG",@progbits,_ZN7rocprim17ROCPRIM_304000_NS6detail20lookback_scan_kernelILNS1_25lookback_scan_determinismE0ELb0ENS1_19wrapped_scan_configINS0_14default_configElEEPKlPlSt4plusIvEllNS1_19lookback_scan_stateIlLb0ELb1EEEEEvT2_T3_mT5_T4_T7_jPT6_SK_bb,comdat
.Lfunc_end9:
	.size	_ZN7rocprim17ROCPRIM_304000_NS6detail20lookback_scan_kernelILNS1_25lookback_scan_determinismE0ELb0ENS1_19wrapped_scan_configINS0_14default_configElEEPKlPlSt4plusIvEllNS1_19lookback_scan_stateIlLb0ELb1EEEEEvT2_T3_mT5_T4_T7_jPT6_SK_bb, .Lfunc_end9-_ZN7rocprim17ROCPRIM_304000_NS6detail20lookback_scan_kernelILNS1_25lookback_scan_determinismE0ELb0ENS1_19wrapped_scan_configINS0_14default_configElEEPKlPlSt4plusIvEllNS1_19lookback_scan_stateIlLb0ELb1EEEEEvT2_T3_mT5_T4_T7_jPT6_SK_bb
                                        ; -- End function
	.section	.AMDGPU.csdata,"",@progbits
; Kernel info:
; codeLenInByte = 7700
; NumSgprs: 28
; NumVgprs: 89
; NumAgprs: 0
; TotalNumVgprs: 89
; ScratchSize: 0
; MemoryBound: 0
; FloatMode: 240
; IeeeMode: 1
; LDSByteSize: 10752 bytes/workgroup (compile time only)
; SGPRBlocks: 3
; VGPRBlocks: 11
; NumSGPRsForWavesPerEU: 28
; NumVGPRsForWavesPerEU: 89
; AccumOffset: 92
; Occupancy: 2
; WaveLimiterHint : 1
; COMPUTE_PGM_RSRC2:SCRATCH_EN: 0
; COMPUTE_PGM_RSRC2:USER_SGPR: 6
; COMPUTE_PGM_RSRC2:TRAP_HANDLER: 0
; COMPUTE_PGM_RSRC2:TGID_X_EN: 1
; COMPUTE_PGM_RSRC2:TGID_Y_EN: 0
; COMPUTE_PGM_RSRC2:TGID_Z_EN: 0
; COMPUTE_PGM_RSRC2:TIDIG_COMP_CNT: 0
; COMPUTE_PGM_RSRC3_GFX90A:ACCUM_OFFSET: 22
; COMPUTE_PGM_RSRC3_GFX90A:TG_SPLIT: 0
	.section	.text._ZN7rocprim17ROCPRIM_304000_NS6detail16transform_kernelINS1_24wrapped_transform_configINS0_14default_configElEElPlS6_NS0_8identityIlEEEEvT1_mT2_T3_,"axG",@progbits,_ZN7rocprim17ROCPRIM_304000_NS6detail16transform_kernelINS1_24wrapped_transform_configINS0_14default_configElEElPlS6_NS0_8identityIlEEEEvT1_mT2_T3_,comdat
	.protected	_ZN7rocprim17ROCPRIM_304000_NS6detail16transform_kernelINS1_24wrapped_transform_configINS0_14default_configElEElPlS6_NS0_8identityIlEEEEvT1_mT2_T3_ ; -- Begin function _ZN7rocprim17ROCPRIM_304000_NS6detail16transform_kernelINS1_24wrapped_transform_configINS0_14default_configElEElPlS6_NS0_8identityIlEEEEvT1_mT2_T3_
	.globl	_ZN7rocprim17ROCPRIM_304000_NS6detail16transform_kernelINS1_24wrapped_transform_configINS0_14default_configElEElPlS6_NS0_8identityIlEEEEvT1_mT2_T3_
	.p2align	8
	.type	_ZN7rocprim17ROCPRIM_304000_NS6detail16transform_kernelINS1_24wrapped_transform_configINS0_14default_configElEElPlS6_NS0_8identityIlEEEEvT1_mT2_T3_,@function
_ZN7rocprim17ROCPRIM_304000_NS6detail16transform_kernelINS1_24wrapped_transform_configINS0_14default_configElEElPlS6_NS0_8identityIlEEEEvT1_mT2_T3_: ; @_ZN7rocprim17ROCPRIM_304000_NS6detail16transform_kernelINS1_24wrapped_transform_configINS0_14default_configElEElPlS6_NS0_8identityIlEEEEvT1_mT2_T3_
; %bb.0:
	s_load_dword s7, s[4:5], 0x20
	s_load_dwordx4 s[0:3], s[4:5], 0x0
	s_load_dwordx2 s[8:9], s[4:5], 0x10
	s_lshl_b32 s10, s6, 9
	s_mov_b32 s11, 0
	s_waitcnt lgkmcnt(0)
	s_add_i32 s7, s7, -1
	s_lshl_b64 s[4:5], s[10:11], 3
	s_add_u32 s0, s0, s4
	s_addc_u32 s1, s1, s5
	v_lshlrev_b32_e32 v1, 3, v0
	v_mov_b32_e32 v2, s1
	v_add_co_u32_e32 v6, vcc, s0, v1
	s_cmp_lg_u32 s6, s7
	v_addc_co_u32_e32 v7, vcc, 0, v2, vcc
	s_cbranch_scc0 .LBB10_2
; %bb.1:
	global_load_dwordx2 v[2:3], v[6:7], off
	global_load_dwordx2 v[4:5], v[6:7], off offset:2048
	s_add_u32 s6, s8, s4
	s_addc_u32 s7, s9, s5
	s_waitcnt vmcnt(1)
	global_store_dwordx2 v1, v[2:3], s[6:7]
	s_mov_b64 s[6:7], -1
	s_cbranch_execz .LBB10_3
	s_branch .LBB10_10
.LBB10_2:
	s_mov_b64 s[6:7], 0
                                        ; implicit-def: $vgpr4_vgpr5
.LBB10_3:
	s_sub_i32 s2, s2, s10
	v_cmp_gt_u32_e32 vcc, s2, v0
                                        ; implicit-def: $vgpr2_vgpr3_vgpr4_vgpr5
	s_and_saveexec_b64 s[0:1], vcc
	s_cbranch_execz .LBB10_5
; %bb.4:
	global_load_dwordx2 v[2:3], v[6:7], off
.LBB10_5:
	s_or_b64 exec, exec, s[0:1]
	v_or_b32_e32 v0, 0x100, v0
	v_cmp_gt_u32_e64 s[0:1], s2, v0
	s_and_saveexec_b64 s[2:3], s[0:1]
	s_cbranch_execnz .LBB10_13
; %bb.6:
	s_or_b64 exec, exec, s[2:3]
	s_and_saveexec_b64 s[2:3], vcc
	s_cbranch_execnz .LBB10_14
.LBB10_7:
	s_or_b64 exec, exec, s[2:3]
	s_and_saveexec_b64 s[2:3], s[0:1]
.LBB10_8:
	s_or_b64 s[6:7], s[6:7], exec
.LBB10_9:
	s_or_b64 exec, exec, s[2:3]
.LBB10_10:
	s_and_saveexec_b64 s[0:1], s[6:7]
	s_cbranch_execnz .LBB10_12
; %bb.11:
	s_endpgm
.LBB10_12:
	s_add_u32 s0, s8, s4
	s_addc_u32 s1, s9, s5
	s_waitcnt vmcnt(0)
	global_store_dwordx2 v1, v[4:5], s[0:1] offset:2048
	s_endpgm
.LBB10_13:
	global_load_dwordx2 v[4:5], v[6:7], off offset:2048
	s_or_b64 exec, exec, s[2:3]
	s_and_saveexec_b64 s[2:3], vcc
	s_cbranch_execz .LBB10_7
.LBB10_14:
	s_add_u32 s10, s8, s4
	s_addc_u32 s11, s9, s5
	s_waitcnt vmcnt(0)
	global_store_dwordx2 v1, v[2:3], s[10:11]
	s_or_b64 exec, exec, s[2:3]
	s_and_saveexec_b64 s[2:3], s[0:1]
	s_cbranch_execnz .LBB10_8
	s_branch .LBB10_9
	.section	.rodata,"a",@progbits
	.p2align	6, 0x0
	.amdhsa_kernel _ZN7rocprim17ROCPRIM_304000_NS6detail16transform_kernelINS1_24wrapped_transform_configINS0_14default_configElEElPlS6_NS0_8identityIlEEEEvT1_mT2_T3_
		.amdhsa_group_segment_fixed_size 0
		.amdhsa_private_segment_fixed_size 0
		.amdhsa_kernarg_size 288
		.amdhsa_user_sgpr_count 6
		.amdhsa_user_sgpr_private_segment_buffer 1
		.amdhsa_user_sgpr_dispatch_ptr 0
		.amdhsa_user_sgpr_queue_ptr 0
		.amdhsa_user_sgpr_kernarg_segment_ptr 1
		.amdhsa_user_sgpr_dispatch_id 0
		.amdhsa_user_sgpr_flat_scratch_init 0
		.amdhsa_user_sgpr_kernarg_preload_length 0
		.amdhsa_user_sgpr_kernarg_preload_offset 0
		.amdhsa_user_sgpr_private_segment_size 0
		.amdhsa_uses_dynamic_stack 0
		.amdhsa_system_sgpr_private_segment_wavefront_offset 0
		.amdhsa_system_sgpr_workgroup_id_x 1
		.amdhsa_system_sgpr_workgroup_id_y 0
		.amdhsa_system_sgpr_workgroup_id_z 0
		.amdhsa_system_sgpr_workgroup_info 0
		.amdhsa_system_vgpr_workitem_id 0
		.amdhsa_next_free_vgpr 8
		.amdhsa_next_free_sgpr 12
		.amdhsa_accum_offset 8
		.amdhsa_reserve_vcc 1
		.amdhsa_reserve_flat_scratch 0
		.amdhsa_float_round_mode_32 0
		.amdhsa_float_round_mode_16_64 0
		.amdhsa_float_denorm_mode_32 3
		.amdhsa_float_denorm_mode_16_64 3
		.amdhsa_dx10_clamp 1
		.amdhsa_ieee_mode 1
		.amdhsa_fp16_overflow 0
		.amdhsa_tg_split 0
		.amdhsa_exception_fp_ieee_invalid_op 0
		.amdhsa_exception_fp_denorm_src 0
		.amdhsa_exception_fp_ieee_div_zero 0
		.amdhsa_exception_fp_ieee_overflow 0
		.amdhsa_exception_fp_ieee_underflow 0
		.amdhsa_exception_fp_ieee_inexact 0
		.amdhsa_exception_int_div_zero 0
	.end_amdhsa_kernel
	.section	.text._ZN7rocprim17ROCPRIM_304000_NS6detail16transform_kernelINS1_24wrapped_transform_configINS0_14default_configElEElPlS6_NS0_8identityIlEEEEvT1_mT2_T3_,"axG",@progbits,_ZN7rocprim17ROCPRIM_304000_NS6detail16transform_kernelINS1_24wrapped_transform_configINS0_14default_configElEElPlS6_NS0_8identityIlEEEEvT1_mT2_T3_,comdat
.Lfunc_end10:
	.size	_ZN7rocprim17ROCPRIM_304000_NS6detail16transform_kernelINS1_24wrapped_transform_configINS0_14default_configElEElPlS6_NS0_8identityIlEEEEvT1_mT2_T3_, .Lfunc_end10-_ZN7rocprim17ROCPRIM_304000_NS6detail16transform_kernelINS1_24wrapped_transform_configINS0_14default_configElEElPlS6_NS0_8identityIlEEEEvT1_mT2_T3_
                                        ; -- End function
	.section	.AMDGPU.csdata,"",@progbits
; Kernel info:
; codeLenInByte = 300
; NumSgprs: 16
; NumVgprs: 8
; NumAgprs: 0
; TotalNumVgprs: 8
; ScratchSize: 0
; MemoryBound: 1
; FloatMode: 240
; IeeeMode: 1
; LDSByteSize: 0 bytes/workgroup (compile time only)
; SGPRBlocks: 1
; VGPRBlocks: 0
; NumSGPRsForWavesPerEU: 16
; NumVGPRsForWavesPerEU: 8
; AccumOffset: 8
; Occupancy: 8
; WaveLimiterHint : 1
; COMPUTE_PGM_RSRC2:SCRATCH_EN: 0
; COMPUTE_PGM_RSRC2:USER_SGPR: 6
; COMPUTE_PGM_RSRC2:TRAP_HANDLER: 0
; COMPUTE_PGM_RSRC2:TGID_X_EN: 1
; COMPUTE_PGM_RSRC2:TGID_Y_EN: 0
; COMPUTE_PGM_RSRC2:TGID_Z_EN: 0
; COMPUTE_PGM_RSRC2:TIDIG_COMP_CNT: 0
; COMPUTE_PGM_RSRC3_GFX90A:ACCUM_OFFSET: 1
; COMPUTE_PGM_RSRC3_GFX90A:TG_SPLIT: 0
	.section	.text._ZN7rocprim17ROCPRIM_304000_NS6detail18single_scan_kernelILb0ENS1_19wrapped_scan_configINS0_14default_configElEEPKlPlSt4plusIvEllEEvT1_mT4_T2_T3_,"axG",@progbits,_ZN7rocprim17ROCPRIM_304000_NS6detail18single_scan_kernelILb0ENS1_19wrapped_scan_configINS0_14default_configElEEPKlPlSt4plusIvEllEEvT1_mT4_T2_T3_,comdat
	.protected	_ZN7rocprim17ROCPRIM_304000_NS6detail18single_scan_kernelILb0ENS1_19wrapped_scan_configINS0_14default_configElEEPKlPlSt4plusIvEllEEvT1_mT4_T2_T3_ ; -- Begin function _ZN7rocprim17ROCPRIM_304000_NS6detail18single_scan_kernelILb0ENS1_19wrapped_scan_configINS0_14default_configElEEPKlPlSt4plusIvEllEEvT1_mT4_T2_T3_
	.globl	_ZN7rocprim17ROCPRIM_304000_NS6detail18single_scan_kernelILb0ENS1_19wrapped_scan_configINS0_14default_configElEEPKlPlSt4plusIvEllEEvT1_mT4_T2_T3_
	.p2align	8
	.type	_ZN7rocprim17ROCPRIM_304000_NS6detail18single_scan_kernelILb0ENS1_19wrapped_scan_configINS0_14default_configElEEPKlPlSt4plusIvEllEEvT1_mT4_T2_T3_,@function
_ZN7rocprim17ROCPRIM_304000_NS6detail18single_scan_kernelILb0ENS1_19wrapped_scan_configINS0_14default_configElEEPKlPlSt4plusIvEllEEvT1_mT4_T2_T3_: ; @_ZN7rocprim17ROCPRIM_304000_NS6detail18single_scan_kernelILb0ENS1_19wrapped_scan_configINS0_14default_configElEEPKlPlSt4plusIvEllEEvT1_mT4_T2_T3_
; %bb.0:
	s_load_dwordx4 s[40:43], s[4:5], 0x0
	v_lshlrev_b32_e32 v47, 3, v0
	s_waitcnt lgkmcnt(0)
	s_load_dwordx2 s[46:47], s[40:41], 0x0
	v_mov_b32_e32 v1, s41
	v_add_co_u32_e32 v4, vcc, s40, v47
	v_addc_co_u32_e32 v5, vcc, 0, v1, vcc
	v_cmp_gt_u32_e64 s[0:1], s42, v0
	s_waitcnt lgkmcnt(0)
	v_pk_mov_b32 v[2:3], s[46:47], s[46:47] op_sel:[0,1]
	s_and_saveexec_b64 s[2:3], s[0:1]
	s_cbranch_execz .LBB11_2
; %bb.1:
	global_load_dwordx2 v[2:3], v[4:5], off
.LBB11_2:
	s_or_b64 exec, exec, s[2:3]
	v_or_b32_e32 v1, 64, v0
	v_cmp_gt_u32_e64 s[2:3], s42, v1
	v_pk_mov_b32 v[6:7], s[46:47], s[46:47] op_sel:[0,1]
	s_and_saveexec_b64 s[6:7], s[2:3]
	s_cbranch_execz .LBB11_4
; %bb.3:
	global_load_dwordx2 v[6:7], v[4:5], off offset:512
.LBB11_4:
	s_or_b64 exec, exec, s[6:7]
	v_or_b32_e32 v1, 0x80, v0
	v_cmp_gt_u32_e64 s[44:45], s42, v1
	v_pk_mov_b32 v[8:9], s[46:47], s[46:47] op_sel:[0,1]
	s_and_saveexec_b64 s[6:7], s[44:45]
	s_cbranch_execz .LBB11_6
; %bb.5:
	global_load_dwordx2 v[8:9], v[4:5], off offset:1024
.LBB11_6:
	;; [unrolled: 9-line block ×7, first 2 shown]
	s_or_b64 exec, exec, s[16:17]
	v_or_b32_e32 v1, 0x200, v0
	v_cmp_gt_u32_e64 s[16:17], s42, v1
	v_pk_mov_b32 v[20:21], s[46:47], s[46:47] op_sel:[0,1]
	s_and_saveexec_b64 s[18:19], s[16:17]
	s_cbranch_execz .LBB11_18
; %bb.17:
	v_add_co_u32_e32 v20, vcc, 0x1000, v4
	v_addc_co_u32_e32 v21, vcc, 0, v5, vcc
	global_load_dwordx2 v[20:21], v[20:21], off
.LBB11_18:
	s_or_b64 exec, exec, s[18:19]
	v_or_b32_e32 v1, 0x240, v0
	v_cmp_gt_u32_e64 s[18:19], s42, v1
	v_pk_mov_b32 v[22:23], s[46:47], s[46:47] op_sel:[0,1]
	s_and_saveexec_b64 s[20:21], s[18:19]
	s_cbranch_execz .LBB11_20
; %bb.19:
	v_add_co_u32_e32 v22, vcc, 0x1000, v4
	v_addc_co_u32_e32 v23, vcc, 0, v5, vcc
	global_load_dwordx2 v[22:23], v[22:23], off offset:512
.LBB11_20:
	s_or_b64 exec, exec, s[20:21]
	v_or_b32_e32 v1, 0x280, v0
	v_cmp_gt_u32_e64 s[20:21], s42, v1
	v_pk_mov_b32 v[24:25], s[46:47], s[46:47] op_sel:[0,1]
	s_and_saveexec_b64 s[22:23], s[20:21]
	s_cbranch_execz .LBB11_22
; %bb.21:
	v_add_co_u32_e32 v24, vcc, 0x1000, v4
	v_addc_co_u32_e32 v25, vcc, 0, v5, vcc
	global_load_dwordx2 v[24:25], v[24:25], off offset:1024
.LBB11_22:
	;; [unrolled: 11-line block ×7, first 2 shown]
	s_or_b64 exec, exec, s[34:35]
	v_or_b32_e32 v1, 0x400, v0
	v_cmp_gt_u32_e64 s[34:35], s42, v1
	v_pk_mov_b32 v[36:37], s[46:47], s[46:47] op_sel:[0,1]
	s_and_saveexec_b64 s[36:37], s[34:35]
	s_cbranch_execz .LBB11_34
; %bb.33:
	v_add_co_u32_e32 v36, vcc, 0x2000, v4
	v_addc_co_u32_e32 v37, vcc, 0, v5, vcc
	global_load_dwordx2 v[36:37], v[36:37], off
.LBB11_34:
	s_or_b64 exec, exec, s[36:37]
	v_or_b32_e32 v1, 0x440, v0
	v_cmp_gt_u32_e64 s[36:37], s42, v1
	v_pk_mov_b32 v[38:39], s[46:47], s[46:47] op_sel:[0,1]
	s_and_saveexec_b64 s[38:39], s[36:37]
	s_cbranch_execz .LBB11_36
; %bb.35:
	v_add_co_u32_e32 v38, vcc, 0x2000, v4
	v_addc_co_u32_e32 v39, vcc, 0, v5, vcc
	global_load_dwordx2 v[38:39], v[38:39], off offset:512
.LBB11_36:
	s_or_b64 exec, exec, s[38:39]
	v_or_b32_e32 v1, 0x480, v0
	v_cmp_gt_u32_e64 s[38:39], s42, v1
	v_pk_mov_b32 v[40:41], s[46:47], s[46:47] op_sel:[0,1]
	s_and_saveexec_b64 s[40:41], s[38:39]
	s_cbranch_execz .LBB11_38
; %bb.37:
	v_add_co_u32_e32 v40, vcc, 0x2000, v4
	v_addc_co_u32_e32 v41, vcc, 0, v5, vcc
	global_load_dwordx2 v[40:41], v[40:41], off offset:1024
.LBB11_38:
	;; [unrolled: 11-line block ×4, first 2 shown]
	s_or_b64 exec, exec, s[46:47]
	s_movk_i32 s33, 0xa0
	v_mad_u32_u24 v1, v0, s33, v47
	s_waitcnt vmcnt(0)
	ds_write2st64_b64 v47, v[2:3], v[6:7] offset1:1
	ds_write2st64_b64 v47, v[8:9], v[10:11] offset0:2 offset1:3
	ds_write2st64_b64 v47, v[12:13], v[14:15] offset0:4 offset1:5
	;; [unrolled: 1-line block ×9, first 2 shown]
	ds_write_b64 v47, v[44:45] offset:10240
	s_waitcnt lgkmcnt(0)
	; wave barrier
	s_waitcnt lgkmcnt(0)
	ds_read2_b64 v[2:5], v1 offset1:1
	ds_read2_b64 v[6:9], v1 offset0:2 offset1:3
	ds_read2_b64 v[10:13], v1 offset0:4 offset1:5
	;; [unrolled: 1-line block ×9, first 2 shown]
	ds_read_b64 v[42:43], v1 offset:160
	s_waitcnt lgkmcnt(10)
	v_add_co_u32_e32 v1, vcc, v4, v2
	v_addc_co_u32_e32 v44, vcc, v5, v3, vcc
	s_waitcnt lgkmcnt(9)
	v_add_co_u32_e32 v1, vcc, v1, v6
	v_addc_co_u32_e32 v44, vcc, v44, v7, vcc
	v_add_co_u32_e32 v1, vcc, v1, v8
	v_addc_co_u32_e32 v44, vcc, v44, v9, vcc
	s_waitcnt lgkmcnt(8)
	v_add_co_u32_e32 v1, vcc, v1, v10
	v_addc_co_u32_e32 v44, vcc, v44, v11, vcc
	;; [unrolled: 5-line block ×10, first 2 shown]
	s_nop 0
	v_mov_b32_dpp v46, v44 row_shr:1 row_mask:0xf bank_mask:0xf
	v_add_co_u32_e32 v46, vcc, v44, v46
	v_mbcnt_lo_u32_b32 v1, -1, 0
	v_addc_co_u32_e32 v50, vcc, 0, v45, vcc
	v_mbcnt_hi_u32_b32 v48, -1, v1
	v_mov_b32_dpp v49, v45 row_shr:1 row_mask:0xf bank_mask:0xf
	v_add_co_u32_e32 v51, vcc, 0, v46
	v_and_b32_e32 v1, 15, v48
	v_addc_co_u32_e32 v49, vcc, v49, v50, vcc
	v_cmp_eq_u32_e32 vcc, 0, v1
	v_cndmask_b32_e32 v46, v46, v44, vcc
	v_cndmask_b32_e32 v49, v49, v45, vcc
	v_cndmask_b32_e32 v50, v51, v44, vcc
	v_mov_b32_dpp v51, v46 row_shr:2 row_mask:0xf bank_mask:0xf
	v_mov_b32_dpp v52, v49 row_shr:2 row_mask:0xf bank_mask:0xf
	v_add_co_u32_e32 v51, vcc, v51, v50
	v_addc_co_u32_e32 v52, vcc, v52, v49, vcc
	v_cmp_lt_u32_e32 vcc, 1, v1
	v_cndmask_b32_e32 v46, v46, v51, vcc
	v_cndmask_b32_e32 v49, v49, v52, vcc
	v_cndmask_b32_e32 v50, v50, v51, vcc
	v_mov_b32_dpp v51, v46 row_shr:4 row_mask:0xf bank_mask:0xf
	v_mov_b32_dpp v52, v49 row_shr:4 row_mask:0xf bank_mask:0xf
	v_add_co_u32_e32 v51, vcc, v51, v50
	v_addc_co_u32_e32 v52, vcc, v52, v49, vcc
	v_cmp_lt_u32_e32 vcc, 3, v1
	;; [unrolled: 8-line block ×3, first 2 shown]
	v_cndmask_b32_e32 v53, v46, v51, vcc
	v_cndmask_b32_e32 v1, v49, v52, vcc
	;; [unrolled: 1-line block ×3, first 2 shown]
	v_mov_b32_dpp v49, v53 row_bcast:15 row_mask:0xf bank_mask:0xf
	v_mov_b32_dpp v50, v1 row_bcast:15 row_mask:0xf bank_mask:0xf
	v_add_co_u32_e32 v49, vcc, v49, v46
	v_and_b32_e32 v52, 16, v48
	v_addc_co_u32_e32 v51, vcc, v50, v1, vcc
	v_cmp_eq_u32_e32 vcc, 0, v52
	v_cndmask_b32_e32 v52, v51, v1, vcc
	v_cndmask_b32_e32 v50, v49, v53, vcc
	v_cmp_ne_u32_e64 s[46:47], 0, v48
	v_mov_b32_dpp v52, v52 row_bcast:31 row_mask:0xf bank_mask:0xf
	v_mov_b32_dpp v50, v50 row_bcast:31 row_mask:0xf bank_mask:0xf
	s_waitcnt lgkmcnt(0)
	; wave barrier
	s_and_saveexec_b64 s[48:49], s[46:47]
; %bb.43:
	v_cndmask_b32_e32 v1, v51, v1, vcc
	v_cndmask_b32_e32 v44, v49, v46, vcc
	v_cmp_lt_u32_e32 vcc, 31, v48
	v_cndmask_b32_e32 v46, 0, v50, vcc
	v_cndmask_b32_e32 v45, 0, v52, vcc
	v_add_co_u32_e32 v44, vcc, v46, v44
	v_addc_co_u32_e32 v45, vcc, v45, v1, vcc
; %bb.44:
	s_or_b64 exec, exec, s[48:49]
	v_mul_u32_u24_e32 v1, 0xa0, v0
	v_cmp_eq_u32_e32 vcc, 63, v0
	s_and_saveexec_b64 s[46:47], vcc
	s_cbranch_execz .LBB11_46
; %bb.45:
	v_mov_b32_e32 v46, 0
	ds_write_b64 v46, v[44:45]
.LBB11_46:
	s_or_b64 exec, exec, s[46:47]
	v_add_u32_e32 v46, -1, v48
	v_and_b32_e32 v49, 64, v48
	v_cmp_lt_i32_e32 vcc, v46, v49
	v_cndmask_b32_e32 v46, v46, v48, vcc
	v_lshlrev_b32_e32 v46, 2, v46
	ds_bpermute_b32 v44, v46, v44
	ds_bpermute_b32 v45, v46, v45
	v_cmp_ne_u32_e32 vcc, 0, v0
	s_waitcnt lgkmcnt(0)
	; wave barrier
	s_waitcnt lgkmcnt(0)
	v_cndmask_b32_e32 v44, 0, v44, vcc
	v_cndmask_b32_e32 v0, 0, v45, vcc
	v_add_co_u32_e32 v2, vcc, v44, v2
	v_addc_co_u32_e32 v3, vcc, v0, v3, vcc
	v_add_co_u32_e32 v4, vcc, v2, v4
	v_addc_co_u32_e32 v5, vcc, v3, v5, vcc
	;; [unrolled: 2-line block ×20, first 2 shown]
	v_add_co_u32_e32 v42, vcc, v40, v42
	v_add_u32_e32 v0, v47, v1
	v_addc_co_u32_e32 v43, vcc, v41, v43, vcc
	s_waitcnt lgkmcnt(0)
	; wave barrier
	ds_write2_b64 v0, v[2:3], v[4:5] offset1:1
	ds_write2_b64 v0, v[6:7], v[8:9] offset0:2 offset1:3
	ds_write2_b64 v0, v[10:11], v[12:13] offset0:4 offset1:5
	;; [unrolled: 1-line block ×9, first 2 shown]
	ds_write_b64 v0, v[42:43] offset:160
	s_waitcnt lgkmcnt(0)
	; wave barrier
	s_waitcnt lgkmcnt(0)
	ds_read2st64_b64 v[36:39], v47 offset0:1 offset1:2
	ds_read2st64_b64 v[32:35], v47 offset0:3 offset1:4
	;; [unrolled: 1-line block ×10, first 2 shown]
	s_load_dwordx2 s[4:5], s[4:5], 0x18
	s_waitcnt lgkmcnt(0)
	v_mov_b32_e32 v41, s5
	v_add_co_u32_e32 v40, vcc, s4, v47
	v_addc_co_u32_e32 v41, vcc, 0, v41, vcc
	s_and_saveexec_b64 s[4:5], s[0:1]
	s_cbranch_execnz .LBB11_68
; %bb.47:
	s_or_b64 exec, exec, s[4:5]
	s_and_saveexec_b64 s[0:1], s[2:3]
	s_cbranch_execnz .LBB11_69
.LBB11_48:
	s_or_b64 exec, exec, s[0:1]
	s_and_saveexec_b64 s[0:1], s[44:45]
	s_cbranch_execnz .LBB11_70
.LBB11_49:
	s_or_b64 exec, exec, s[0:1]
	s_and_saveexec_b64 s[0:1], s[6:7]
	s_cbranch_execnz .LBB11_71
.LBB11_50:
	s_or_b64 exec, exec, s[0:1]
	s_and_saveexec_b64 s[0:1], s[8:9]
	s_cbranch_execnz .LBB11_72
.LBB11_51:
	s_or_b64 exec, exec, s[0:1]
	s_and_saveexec_b64 s[0:1], s[10:11]
	s_cbranch_execnz .LBB11_73
.LBB11_52:
	s_or_b64 exec, exec, s[0:1]
	s_and_saveexec_b64 s[0:1], s[12:13]
	s_cbranch_execnz .LBB11_74
.LBB11_53:
	s_or_b64 exec, exec, s[0:1]
	s_and_saveexec_b64 s[0:1], s[14:15]
	s_cbranch_execnz .LBB11_75
.LBB11_54:
	s_or_b64 exec, exec, s[0:1]
	s_and_saveexec_b64 s[0:1], s[16:17]
	s_cbranch_execnz .LBB11_76
.LBB11_55:
	s_or_b64 exec, exec, s[0:1]
	s_and_saveexec_b64 s[0:1], s[18:19]
	s_cbranch_execnz .LBB11_77
.LBB11_56:
	s_or_b64 exec, exec, s[0:1]
	s_and_saveexec_b64 s[0:1], s[20:21]
	s_cbranch_execnz .LBB11_78
.LBB11_57:
	s_or_b64 exec, exec, s[0:1]
	s_and_saveexec_b64 s[0:1], s[22:23]
	s_cbranch_execnz .LBB11_79
.LBB11_58:
	s_or_b64 exec, exec, s[0:1]
	s_and_saveexec_b64 s[0:1], s[24:25]
	s_cbranch_execnz .LBB11_80
.LBB11_59:
	s_or_b64 exec, exec, s[0:1]
	s_and_saveexec_b64 s[0:1], s[26:27]
	s_cbranch_execnz .LBB11_81
.LBB11_60:
	s_or_b64 exec, exec, s[0:1]
	s_and_saveexec_b64 s[0:1], s[28:29]
	s_cbranch_execnz .LBB11_82
.LBB11_61:
	s_or_b64 exec, exec, s[0:1]
	s_and_saveexec_b64 s[0:1], s[30:31]
	s_cbranch_execnz .LBB11_83
.LBB11_62:
	s_or_b64 exec, exec, s[0:1]
	s_and_saveexec_b64 s[0:1], s[34:35]
	s_cbranch_execnz .LBB11_84
.LBB11_63:
	s_or_b64 exec, exec, s[0:1]
	s_and_saveexec_b64 s[0:1], s[36:37]
	s_cbranch_execnz .LBB11_85
.LBB11_64:
	s_or_b64 exec, exec, s[0:1]
	s_and_saveexec_b64 s[0:1], s[38:39]
	s_cbranch_execnz .LBB11_86
.LBB11_65:
	s_or_b64 exec, exec, s[0:1]
	s_and_saveexec_b64 s[0:1], s[40:41]
	s_cbranch_execnz .LBB11_87
.LBB11_66:
	s_or_b64 exec, exec, s[0:1]
	s_and_saveexec_b64 s[0:1], s[42:43]
	s_cbranch_execnz .LBB11_88
.LBB11_67:
	s_endpgm
.LBB11_68:
	ds_read_b64 v[42:43], v47
	s_waitcnt lgkmcnt(0)
	global_store_dwordx2 v[40:41], v[42:43], off
	s_or_b64 exec, exec, s[4:5]
	s_and_saveexec_b64 s[0:1], s[2:3]
	s_cbranch_execz .LBB11_48
.LBB11_69:
	global_store_dwordx2 v[40:41], v[36:37], off offset:512
	s_or_b64 exec, exec, s[0:1]
	s_and_saveexec_b64 s[0:1], s[44:45]
	s_cbranch_execz .LBB11_49
.LBB11_70:
	global_store_dwordx2 v[40:41], v[38:39], off offset:1024
	s_or_b64 exec, exec, s[0:1]
	s_and_saveexec_b64 s[0:1], s[6:7]
	s_cbranch_execz .LBB11_50
.LBB11_71:
	global_store_dwordx2 v[40:41], v[32:33], off offset:1536
	s_or_b64 exec, exec, s[0:1]
	s_and_saveexec_b64 s[0:1], s[8:9]
	s_cbranch_execz .LBB11_51
.LBB11_72:
	global_store_dwordx2 v[40:41], v[34:35], off offset:2048
	s_or_b64 exec, exec, s[0:1]
	s_and_saveexec_b64 s[0:1], s[10:11]
	s_cbranch_execz .LBB11_52
.LBB11_73:
	global_store_dwordx2 v[40:41], v[28:29], off offset:2560
	s_or_b64 exec, exec, s[0:1]
	s_and_saveexec_b64 s[0:1], s[12:13]
	s_cbranch_execz .LBB11_53
.LBB11_74:
	global_store_dwordx2 v[40:41], v[30:31], off offset:3072
	s_or_b64 exec, exec, s[0:1]
	s_and_saveexec_b64 s[0:1], s[14:15]
	s_cbranch_execz .LBB11_54
.LBB11_75:
	global_store_dwordx2 v[40:41], v[24:25], off offset:3584
	s_or_b64 exec, exec, s[0:1]
	s_and_saveexec_b64 s[0:1], s[16:17]
	s_cbranch_execz .LBB11_55
.LBB11_76:
	v_add_co_u32_e32 v24, vcc, 0x1000, v40
	v_addc_co_u32_e32 v25, vcc, 0, v41, vcc
	global_store_dwordx2 v[24:25], v[26:27], off
	s_or_b64 exec, exec, s[0:1]
	s_and_saveexec_b64 s[0:1], s[18:19]
	s_cbranch_execz .LBB11_56
.LBB11_77:
	v_add_co_u32_e32 v24, vcc, 0x1000, v40
	v_addc_co_u32_e32 v25, vcc, 0, v41, vcc
	global_store_dwordx2 v[24:25], v[20:21], off offset:512
	s_or_b64 exec, exec, s[0:1]
	s_and_saveexec_b64 s[0:1], s[20:21]
	s_cbranch_execz .LBB11_57
.LBB11_78:
	v_add_co_u32_e32 v20, vcc, 0x1000, v40
	v_addc_co_u32_e32 v21, vcc, 0, v41, vcc
	global_store_dwordx2 v[20:21], v[22:23], off offset:1024
	s_or_b64 exec, exec, s[0:1]
	s_and_saveexec_b64 s[0:1], s[22:23]
	s_cbranch_execz .LBB11_58
.LBB11_79:
	v_add_co_u32_e32 v20, vcc, 0x1000, v40
	v_addc_co_u32_e32 v21, vcc, 0, v41, vcc
	global_store_dwordx2 v[20:21], v[16:17], off offset:1536
	s_or_b64 exec, exec, s[0:1]
	s_and_saveexec_b64 s[0:1], s[24:25]
	s_cbranch_execz .LBB11_59
.LBB11_80:
	v_add_co_u32_e32 v16, vcc, 0x1000, v40
	v_addc_co_u32_e32 v17, vcc, 0, v41, vcc
	global_store_dwordx2 v[16:17], v[18:19], off offset:2048
	s_or_b64 exec, exec, s[0:1]
	s_and_saveexec_b64 s[0:1], s[26:27]
	s_cbranch_execz .LBB11_60
.LBB11_81:
	v_add_co_u32_e32 v16, vcc, 0x1000, v40
	v_addc_co_u32_e32 v17, vcc, 0, v41, vcc
	global_store_dwordx2 v[16:17], v[12:13], off offset:2560
	s_or_b64 exec, exec, s[0:1]
	s_and_saveexec_b64 s[0:1], s[28:29]
	s_cbranch_execz .LBB11_61
.LBB11_82:
	v_add_co_u32_e32 v12, vcc, 0x1000, v40
	v_addc_co_u32_e32 v13, vcc, 0, v41, vcc
	global_store_dwordx2 v[12:13], v[14:15], off offset:3072
	s_or_b64 exec, exec, s[0:1]
	s_and_saveexec_b64 s[0:1], s[30:31]
	s_cbranch_execz .LBB11_62
.LBB11_83:
	v_add_co_u32_e32 v12, vcc, 0x1000, v40
	v_addc_co_u32_e32 v13, vcc, 0, v41, vcc
	global_store_dwordx2 v[12:13], v[8:9], off offset:3584
	s_or_b64 exec, exec, s[0:1]
	s_and_saveexec_b64 s[0:1], s[34:35]
	s_cbranch_execz .LBB11_63
.LBB11_84:
	v_add_co_u32_e32 v8, vcc, 0x2000, v40
	v_addc_co_u32_e32 v9, vcc, 0, v41, vcc
	global_store_dwordx2 v[8:9], v[10:11], off
	s_or_b64 exec, exec, s[0:1]
	s_and_saveexec_b64 s[0:1], s[36:37]
	s_cbranch_execz .LBB11_64
.LBB11_85:
	v_add_co_u32_e32 v8, vcc, 0x2000, v40
	v_addc_co_u32_e32 v9, vcc, 0, v41, vcc
	global_store_dwordx2 v[8:9], v[4:5], off offset:512
	s_or_b64 exec, exec, s[0:1]
	s_and_saveexec_b64 s[0:1], s[38:39]
	s_cbranch_execz .LBB11_65
.LBB11_86:
	v_add_co_u32_e32 v4, vcc, 0x2000, v40
	v_addc_co_u32_e32 v5, vcc, 0, v41, vcc
	global_store_dwordx2 v[4:5], v[6:7], off offset:1024
	s_or_b64 exec, exec, s[0:1]
	s_and_saveexec_b64 s[0:1], s[40:41]
	s_cbranch_execz .LBB11_66
.LBB11_87:
	v_add_co_u32_e32 v4, vcc, 0x2000, v40
	v_addc_co_u32_e32 v5, vcc, 0, v41, vcc
	global_store_dwordx2 v[4:5], v[0:1], off offset:1536
	s_or_b64 exec, exec, s[0:1]
	s_and_saveexec_b64 s[0:1], s[42:43]
	s_cbranch_execz .LBB11_67
.LBB11_88:
	v_add_co_u32_e32 v0, vcc, 0x2000, v40
	v_addc_co_u32_e32 v1, vcc, 0, v41, vcc
	global_store_dwordx2 v[0:1], v[2:3], off offset:2048
	s_endpgm
	.section	.rodata,"a",@progbits
	.p2align	6, 0x0
	.amdhsa_kernel _ZN7rocprim17ROCPRIM_304000_NS6detail18single_scan_kernelILb0ENS1_19wrapped_scan_configINS0_14default_configElEEPKlPlSt4plusIvEllEEvT1_mT4_T2_T3_
		.amdhsa_group_segment_fixed_size 10752
		.amdhsa_private_segment_fixed_size 0
		.amdhsa_kernarg_size 36
		.amdhsa_user_sgpr_count 6
		.amdhsa_user_sgpr_private_segment_buffer 1
		.amdhsa_user_sgpr_dispatch_ptr 0
		.amdhsa_user_sgpr_queue_ptr 0
		.amdhsa_user_sgpr_kernarg_segment_ptr 1
		.amdhsa_user_sgpr_dispatch_id 0
		.amdhsa_user_sgpr_flat_scratch_init 0
		.amdhsa_user_sgpr_kernarg_preload_length 0
		.amdhsa_user_sgpr_kernarg_preload_offset 0
		.amdhsa_user_sgpr_private_segment_size 0
		.amdhsa_uses_dynamic_stack 0
		.amdhsa_system_sgpr_private_segment_wavefront_offset 0
		.amdhsa_system_sgpr_workgroup_id_x 1
		.amdhsa_system_sgpr_workgroup_id_y 0
		.amdhsa_system_sgpr_workgroup_id_z 0
		.amdhsa_system_sgpr_workgroup_info 0
		.amdhsa_system_vgpr_workitem_id 0
		.amdhsa_next_free_vgpr 54
		.amdhsa_next_free_sgpr 50
		.amdhsa_accum_offset 56
		.amdhsa_reserve_vcc 1
		.amdhsa_reserve_flat_scratch 0
		.amdhsa_float_round_mode_32 0
		.amdhsa_float_round_mode_16_64 0
		.amdhsa_float_denorm_mode_32 3
		.amdhsa_float_denorm_mode_16_64 3
		.amdhsa_dx10_clamp 1
		.amdhsa_ieee_mode 1
		.amdhsa_fp16_overflow 0
		.amdhsa_tg_split 0
		.amdhsa_exception_fp_ieee_invalid_op 0
		.amdhsa_exception_fp_denorm_src 0
		.amdhsa_exception_fp_ieee_div_zero 0
		.amdhsa_exception_fp_ieee_overflow 0
		.amdhsa_exception_fp_ieee_underflow 0
		.amdhsa_exception_fp_ieee_inexact 0
		.amdhsa_exception_int_div_zero 0
	.end_amdhsa_kernel
	.section	.text._ZN7rocprim17ROCPRIM_304000_NS6detail18single_scan_kernelILb0ENS1_19wrapped_scan_configINS0_14default_configElEEPKlPlSt4plusIvEllEEvT1_mT4_T2_T3_,"axG",@progbits,_ZN7rocprim17ROCPRIM_304000_NS6detail18single_scan_kernelILb0ENS1_19wrapped_scan_configINS0_14default_configElEEPKlPlSt4plusIvEllEEvT1_mT4_T2_T3_,comdat
.Lfunc_end11:
	.size	_ZN7rocprim17ROCPRIM_304000_NS6detail18single_scan_kernelILb0ENS1_19wrapped_scan_configINS0_14default_configElEEPKlPlSt4plusIvEllEEvT1_mT4_T2_T3_, .Lfunc_end11-_ZN7rocprim17ROCPRIM_304000_NS6detail18single_scan_kernelILb0ENS1_19wrapped_scan_configINS0_14default_configElEEPKlPlSt4plusIvEllEEvT1_mT4_T2_T3_
                                        ; -- End function
	.section	.AMDGPU.csdata,"",@progbits
; Kernel info:
; codeLenInByte = 3108
; NumSgprs: 54
; NumVgprs: 54
; NumAgprs: 0
; TotalNumVgprs: 54
; ScratchSize: 0
; MemoryBound: 0
; FloatMode: 240
; IeeeMode: 1
; LDSByteSize: 10752 bytes/workgroup (compile time only)
; SGPRBlocks: 6
; VGPRBlocks: 6
; NumSGPRsForWavesPerEU: 54
; NumVGPRsForWavesPerEU: 54
; AccumOffset: 56
; Occupancy: 2
; WaveLimiterHint : 0
; COMPUTE_PGM_RSRC2:SCRATCH_EN: 0
; COMPUTE_PGM_RSRC2:USER_SGPR: 6
; COMPUTE_PGM_RSRC2:TRAP_HANDLER: 0
; COMPUTE_PGM_RSRC2:TGID_X_EN: 1
; COMPUTE_PGM_RSRC2:TGID_Y_EN: 0
; COMPUTE_PGM_RSRC2:TGID_Z_EN: 0
; COMPUTE_PGM_RSRC2:TIDIG_COMP_CNT: 0
; COMPUTE_PGM_RSRC3_GFX90A:ACCUM_OFFSET: 13
; COMPUTE_PGM_RSRC3_GFX90A:TG_SPLIT: 0
	.section	.text._ZN7rocprim17ROCPRIM_304000_NS6detail20lookback_scan_kernelILNS1_25lookback_scan_determinismE0ELb0ENS1_19wrapped_scan_configINS0_14default_configEiEEPKiPlSt4plusIvEiiNS1_19lookback_scan_stateIiLb1ELb1EEEEEvT2_T3_mT5_T4_T7_jPT6_SK_bb,"axG",@progbits,_ZN7rocprim17ROCPRIM_304000_NS6detail20lookback_scan_kernelILNS1_25lookback_scan_determinismE0ELb0ENS1_19wrapped_scan_configINS0_14default_configEiEEPKiPlSt4plusIvEiiNS1_19lookback_scan_stateIiLb1ELb1EEEEEvT2_T3_mT5_T4_T7_jPT6_SK_bb,comdat
	.protected	_ZN7rocprim17ROCPRIM_304000_NS6detail20lookback_scan_kernelILNS1_25lookback_scan_determinismE0ELb0ENS1_19wrapped_scan_configINS0_14default_configEiEEPKiPlSt4plusIvEiiNS1_19lookback_scan_stateIiLb1ELb1EEEEEvT2_T3_mT5_T4_T7_jPT6_SK_bb ; -- Begin function _ZN7rocprim17ROCPRIM_304000_NS6detail20lookback_scan_kernelILNS1_25lookback_scan_determinismE0ELb0ENS1_19wrapped_scan_configINS0_14default_configEiEEPKiPlSt4plusIvEiiNS1_19lookback_scan_stateIiLb1ELb1EEEEEvT2_T3_mT5_T4_T7_jPT6_SK_bb
	.globl	_ZN7rocprim17ROCPRIM_304000_NS6detail20lookback_scan_kernelILNS1_25lookback_scan_determinismE0ELb0ENS1_19wrapped_scan_configINS0_14default_configEiEEPKiPlSt4plusIvEiiNS1_19lookback_scan_stateIiLb1ELb1EEEEEvT2_T3_mT5_T4_T7_jPT6_SK_bb
	.p2align	8
	.type	_ZN7rocprim17ROCPRIM_304000_NS6detail20lookback_scan_kernelILNS1_25lookback_scan_determinismE0ELb0ENS1_19wrapped_scan_configINS0_14default_configEiEEPKiPlSt4plusIvEiiNS1_19lookback_scan_stateIiLb1ELb1EEEEEvT2_T3_mT5_T4_T7_jPT6_SK_bb,@function
_ZN7rocprim17ROCPRIM_304000_NS6detail20lookback_scan_kernelILNS1_25lookback_scan_determinismE0ELb0ENS1_19wrapped_scan_configINS0_14default_configEiEEPKiPlSt4plusIvEiiNS1_19lookback_scan_stateIiLb1ELb1EEEEEvT2_T3_mT5_T4_T7_jPT6_SK_bb: ; @_ZN7rocprim17ROCPRIM_304000_NS6detail20lookback_scan_kernelILNS1_25lookback_scan_determinismE0ELb0ENS1_19wrapped_scan_configINS0_14default_configEiEEPKiPlSt4plusIvEiiNS1_19lookback_scan_stateIiLb1ELb1EEEEEvT2_T3_mT5_T4_T7_jPT6_SK_bb
; %bb.0:
	s_endpgm
	.section	.rodata,"a",@progbits
	.p2align	6, 0x0
	.amdhsa_kernel _ZN7rocprim17ROCPRIM_304000_NS6detail20lookback_scan_kernelILNS1_25lookback_scan_determinismE0ELb0ENS1_19wrapped_scan_configINS0_14default_configEiEEPKiPlSt4plusIvEiiNS1_19lookback_scan_stateIiLb1ELb1EEEEEvT2_T3_mT5_T4_T7_jPT6_SK_bb
		.amdhsa_group_segment_fixed_size 0
		.amdhsa_private_segment_fixed_size 0
		.amdhsa_kernarg_size 68
		.amdhsa_user_sgpr_count 6
		.amdhsa_user_sgpr_private_segment_buffer 1
		.amdhsa_user_sgpr_dispatch_ptr 0
		.amdhsa_user_sgpr_queue_ptr 0
		.amdhsa_user_sgpr_kernarg_segment_ptr 1
		.amdhsa_user_sgpr_dispatch_id 0
		.amdhsa_user_sgpr_flat_scratch_init 0
		.amdhsa_user_sgpr_kernarg_preload_length 0
		.amdhsa_user_sgpr_kernarg_preload_offset 0
		.amdhsa_user_sgpr_private_segment_size 0
		.amdhsa_uses_dynamic_stack 0
		.amdhsa_system_sgpr_private_segment_wavefront_offset 0
		.amdhsa_system_sgpr_workgroup_id_x 1
		.amdhsa_system_sgpr_workgroup_id_y 0
		.amdhsa_system_sgpr_workgroup_id_z 0
		.amdhsa_system_sgpr_workgroup_info 0
		.amdhsa_system_vgpr_workitem_id 0
		.amdhsa_next_free_vgpr 1
		.amdhsa_next_free_sgpr 0
		.amdhsa_accum_offset 4
		.amdhsa_reserve_vcc 0
		.amdhsa_reserve_flat_scratch 0
		.amdhsa_float_round_mode_32 0
		.amdhsa_float_round_mode_16_64 0
		.amdhsa_float_denorm_mode_32 3
		.amdhsa_float_denorm_mode_16_64 3
		.amdhsa_dx10_clamp 1
		.amdhsa_ieee_mode 1
		.amdhsa_fp16_overflow 0
		.amdhsa_tg_split 0
		.amdhsa_exception_fp_ieee_invalid_op 0
		.amdhsa_exception_fp_denorm_src 0
		.amdhsa_exception_fp_ieee_div_zero 0
		.amdhsa_exception_fp_ieee_overflow 0
		.amdhsa_exception_fp_ieee_underflow 0
		.amdhsa_exception_fp_ieee_inexact 0
		.amdhsa_exception_int_div_zero 0
	.end_amdhsa_kernel
	.section	.text._ZN7rocprim17ROCPRIM_304000_NS6detail20lookback_scan_kernelILNS1_25lookback_scan_determinismE0ELb0ENS1_19wrapped_scan_configINS0_14default_configEiEEPKiPlSt4plusIvEiiNS1_19lookback_scan_stateIiLb1ELb1EEEEEvT2_T3_mT5_T4_T7_jPT6_SK_bb,"axG",@progbits,_ZN7rocprim17ROCPRIM_304000_NS6detail20lookback_scan_kernelILNS1_25lookback_scan_determinismE0ELb0ENS1_19wrapped_scan_configINS0_14default_configEiEEPKiPlSt4plusIvEiiNS1_19lookback_scan_stateIiLb1ELb1EEEEEvT2_T3_mT5_T4_T7_jPT6_SK_bb,comdat
.Lfunc_end12:
	.size	_ZN7rocprim17ROCPRIM_304000_NS6detail20lookback_scan_kernelILNS1_25lookback_scan_determinismE0ELb0ENS1_19wrapped_scan_configINS0_14default_configEiEEPKiPlSt4plusIvEiiNS1_19lookback_scan_stateIiLb1ELb1EEEEEvT2_T3_mT5_T4_T7_jPT6_SK_bb, .Lfunc_end12-_ZN7rocprim17ROCPRIM_304000_NS6detail20lookback_scan_kernelILNS1_25lookback_scan_determinismE0ELb0ENS1_19wrapped_scan_configINS0_14default_configEiEEPKiPlSt4plusIvEiiNS1_19lookback_scan_stateIiLb1ELb1EEEEEvT2_T3_mT5_T4_T7_jPT6_SK_bb
                                        ; -- End function
	.section	.AMDGPU.csdata,"",@progbits
; Kernel info:
; codeLenInByte = 4
; NumSgprs: 4
; NumVgprs: 0
; NumAgprs: 0
; TotalNumVgprs: 0
; ScratchSize: 0
; MemoryBound: 0
; FloatMode: 240
; IeeeMode: 1
; LDSByteSize: 0 bytes/workgroup (compile time only)
; SGPRBlocks: 0
; VGPRBlocks: 0
; NumSGPRsForWavesPerEU: 4
; NumVGPRsForWavesPerEU: 1
; AccumOffset: 4
; Occupancy: 8
; WaveLimiterHint : 0
; COMPUTE_PGM_RSRC2:SCRATCH_EN: 0
; COMPUTE_PGM_RSRC2:USER_SGPR: 6
; COMPUTE_PGM_RSRC2:TRAP_HANDLER: 0
; COMPUTE_PGM_RSRC2:TGID_X_EN: 1
; COMPUTE_PGM_RSRC2:TGID_Y_EN: 0
; COMPUTE_PGM_RSRC2:TGID_Z_EN: 0
; COMPUTE_PGM_RSRC2:TIDIG_COMP_CNT: 0
; COMPUTE_PGM_RSRC3_GFX90A:ACCUM_OFFSET: 0
; COMPUTE_PGM_RSRC3_GFX90A:TG_SPLIT: 0
	.section	.text._ZN7rocprim17ROCPRIM_304000_NS6detail20lookback_scan_kernelILNS1_25lookback_scan_determinismE0ELb0ENS1_19wrapped_scan_configINS0_14default_configEiEEPKiPlSt4plusIvEiiNS1_19lookback_scan_stateIiLb0ELb1EEEEEvT2_T3_mT5_T4_T7_jPT6_SK_bb,"axG",@progbits,_ZN7rocprim17ROCPRIM_304000_NS6detail20lookback_scan_kernelILNS1_25lookback_scan_determinismE0ELb0ENS1_19wrapped_scan_configINS0_14default_configEiEEPKiPlSt4plusIvEiiNS1_19lookback_scan_stateIiLb0ELb1EEEEEvT2_T3_mT5_T4_T7_jPT6_SK_bb,comdat
	.protected	_ZN7rocprim17ROCPRIM_304000_NS6detail20lookback_scan_kernelILNS1_25lookback_scan_determinismE0ELb0ENS1_19wrapped_scan_configINS0_14default_configEiEEPKiPlSt4plusIvEiiNS1_19lookback_scan_stateIiLb0ELb1EEEEEvT2_T3_mT5_T4_T7_jPT6_SK_bb ; -- Begin function _ZN7rocprim17ROCPRIM_304000_NS6detail20lookback_scan_kernelILNS1_25lookback_scan_determinismE0ELb0ENS1_19wrapped_scan_configINS0_14default_configEiEEPKiPlSt4plusIvEiiNS1_19lookback_scan_stateIiLb0ELb1EEEEEvT2_T3_mT5_T4_T7_jPT6_SK_bb
	.globl	_ZN7rocprim17ROCPRIM_304000_NS6detail20lookback_scan_kernelILNS1_25lookback_scan_determinismE0ELb0ENS1_19wrapped_scan_configINS0_14default_configEiEEPKiPlSt4plusIvEiiNS1_19lookback_scan_stateIiLb0ELb1EEEEEvT2_T3_mT5_T4_T7_jPT6_SK_bb
	.p2align	8
	.type	_ZN7rocprim17ROCPRIM_304000_NS6detail20lookback_scan_kernelILNS1_25lookback_scan_determinismE0ELb0ENS1_19wrapped_scan_configINS0_14default_configEiEEPKiPlSt4plusIvEiiNS1_19lookback_scan_stateIiLb0ELb1EEEEEvT2_T3_mT5_T4_T7_jPT6_SK_bb,@function
_ZN7rocprim17ROCPRIM_304000_NS6detail20lookback_scan_kernelILNS1_25lookback_scan_determinismE0ELb0ENS1_19wrapped_scan_configINS0_14default_configEiEEPKiPlSt4plusIvEiiNS1_19lookback_scan_stateIiLb0ELb1EEEEEvT2_T3_mT5_T4_T7_jPT6_SK_bb: ; @_ZN7rocprim17ROCPRIM_304000_NS6detail20lookback_scan_kernelILNS1_25lookback_scan_determinismE0ELb0ENS1_19wrapped_scan_configINS0_14default_configEiEEPKiPlSt4plusIvEiiNS1_19lookback_scan_stateIiLb0ELb1EEEEEvT2_T3_mT5_T4_T7_jPT6_SK_bb
; %bb.0:
	s_load_dword s2, s[4:5], 0x28
	s_load_dwordx4 s[16:19], s[4:5], 0x0
	s_load_dwordx2 s[0:1], s[4:5], 0x10
	s_mul_i32 s20, s6, 0x500
	s_mov_b32 s21, 0
	s_waitcnt lgkmcnt(0)
	s_add_i32 s2, s2, -1
	s_mul_i32 s3, s2, 0x500
	s_sub_u32 s24, s0, s3
	s_subb_u32 s25, s1, 0
	s_cmp_lg_u32 s6, s2
	s_cselect_b64 s[22:23], -1, 0
	s_lshl_b64 s[0:1], s[20:21], 2
	s_add_u32 s2, s16, s0
	s_addc_u32 s3, s17, s1
	s_mov_b64 s[0:1], -1
	s_and_b64 vcc, exec, s[22:23]
	v_lshlrev_b32_e32 v23, 2, v0
	s_cbranch_vccz .LBB13_2
; %bb.1:
	v_mov_b32_e32 v1, s3
	v_add_co_u32_e32 v2, vcc, s2, v23
	v_addc_co_u32_e32 v1, vcc, 0, v1, vcc
	v_add_co_u32_e32 v2, vcc, 0x1000, v2
	v_addc_co_u32_e32 v3, vcc, 0, v1, vcc
	global_load_dword v4, v23, s[2:3]
	global_load_dword v5, v23, s[2:3] offset:512
	global_load_dword v6, v23, s[2:3] offset:1024
	;; [unrolled: 1-line block ×7, first 2 shown]
	global_load_dword v1, v[2:3], off
	global_load_dword v12, v[2:3], off offset:512
	s_mov_b64 s[0:1], 0
	s_waitcnt vmcnt(8)
	ds_write2st64_b32 v23, v4, v5 offset1:2
	s_waitcnt vmcnt(6)
	ds_write2st64_b32 v23, v6, v7 offset0:4 offset1:6
	s_waitcnt vmcnt(4)
	ds_write2st64_b32 v23, v8, v9 offset0:8 offset1:10
	s_waitcnt vmcnt(2)
	ds_write2st64_b32 v23, v10, v11 offset0:12 offset1:14
	s_waitcnt vmcnt(0)
	ds_write2st64_b32 v23, v1, v12 offset0:16 offset1:18
	s_waitcnt lgkmcnt(0)
	s_barrier
.LBB13_2:
	s_andn2_b64 vcc, exec, s[0:1]
	v_cmp_gt_u32_e64 s[0:1], s24, v0
	s_cbranch_vccnz .LBB13_24
; %bb.3:
	s_load_dword s8, s[2:3], 0x0
	v_mov_b32_e32 v1, s3
	v_add_co_u32_e32 v12, vcc, s2, v23
	v_addc_co_u32_e32 v13, vcc, 0, v1, vcc
	s_waitcnt lgkmcnt(0)
	s_mov_b32 s9, s8
	s_mov_b32 s10, s8
	;; [unrolled: 1-line block ×9, first 2 shown]
	v_pk_mov_b32 v[2:3], s[8:9], s[8:9] op_sel:[0,1]
	v_pk_mov_b32 v[4:5], s[10:11], s[10:11] op_sel:[0,1]
	;; [unrolled: 1-line block ×5, first 2 shown]
	v_mov_b32_e32 v1, s8
	s_and_saveexec_b64 s[2:3], s[0:1]
	s_cbranch_execz .LBB13_5
; %bb.4:
	global_load_dword v1, v[12:13], off
	v_pk_mov_b32 v[2:3], s[8:9], s[8:9] op_sel:[0,1]
	v_pk_mov_b32 v[4:5], s[10:11], s[10:11] op_sel:[0,1]
	v_pk_mov_b32 v[6:7], s[12:13], s[12:13] op_sel:[0,1]
	v_pk_mov_b32 v[8:9], s[14:15], s[14:15] op_sel:[0,1]
	v_pk_mov_b32 v[10:11], s[16:17], s[16:17] op_sel:[0,1]
                                        ; kill: def $vgpr2 killed $vgpr1 killed $exec
.LBB13_5:
	s_or_b64 exec, exec, s[2:3]
	v_or_b32_e32 v2, 0x80, v0
	v_cmp_gt_u32_e32 vcc, s24, v2
	s_and_saveexec_b64 s[0:1], vcc
	s_cbranch_execz .LBB13_7
; %bb.6:
	global_load_dword v3, v[12:13], off offset:512
.LBB13_7:
	s_or_b64 exec, exec, s[0:1]
	v_or_b32_e32 v2, 0x100, v0
	v_cmp_gt_u32_e32 vcc, s24, v2
	s_and_saveexec_b64 s[0:1], vcc
	s_cbranch_execz .LBB13_9
; %bb.8:
	global_load_dword v4, v[12:13], off offset:1024
.LBB13_9:
	;; [unrolled: 8-line block ×7, first 2 shown]
	s_or_b64 exec, exec, s[0:1]
	v_or_b32_e32 v2, 0x400, v0
	v_cmp_gt_u32_e32 vcc, s24, v2
	s_and_saveexec_b64 s[0:1], vcc
	s_cbranch_execz .LBB13_21
; %bb.20:
	v_add_co_u32_e32 v14, vcc, 0x1000, v12
	v_addc_co_u32_e32 v15, vcc, 0, v13, vcc
	global_load_dword v10, v[14:15], off
.LBB13_21:
	s_or_b64 exec, exec, s[0:1]
	v_or_b32_e32 v2, 0x480, v0
	v_cmp_gt_u32_e32 vcc, s24, v2
	s_and_saveexec_b64 s[0:1], vcc
	s_cbranch_execz .LBB13_23
; %bb.22:
	v_add_co_u32_e32 v12, vcc, 0x1000, v12
	v_addc_co_u32_e32 v13, vcc, 0, v13, vcc
	global_load_dword v11, v[12:13], off offset:512
.LBB13_23:
	s_or_b64 exec, exec, s[0:1]
	s_waitcnt vmcnt(0)
	ds_write2st64_b32 v23, v1, v3 offset1:2
	ds_write2st64_b32 v23, v4, v5 offset0:4 offset1:6
	ds_write2st64_b32 v23, v6, v7 offset0:8 offset1:10
	;; [unrolled: 1-line block ×4, first 2 shown]
	s_waitcnt lgkmcnt(0)
	s_barrier
.LBB13_24:
	v_mul_u32_u24_e32 v22, 10, v0
	v_lshlrev_b32_e32 v1, 2, v22
	ds_read2_b64 v[16:19], v1 offset1:1
	ds_read2_b64 v[12:15], v1 offset0:2 offset1:3
	ds_read_b64 v[20:21], v1 offset:32
	s_load_dwordx2 s[12:13], s[4:5], 0x20
	s_cmp_lg_u32 s6, 0
	v_lshrrev_b32_e32 v24, 5, v0
	v_cmp_gt_u32_e32 vcc, 64, v0
	s_waitcnt lgkmcnt(0)
	s_barrier
	s_cbranch_scc0 .LBB13_49
; %bb.25:
	v_add_u32_e32 v2, v17, v16
	v_add3_u32 v2, v2, v18, v19
	v_add3_u32 v2, v2, v12, v13
	;; [unrolled: 1-line block ×4, first 2 shown]
	v_add_lshl_u32 v3, v24, v0, 2
	ds_write_b32 v3, v2
	s_waitcnt lgkmcnt(0)
	s_barrier
	s_and_saveexec_b64 s[2:3], vcc
	s_cbranch_execz .LBB13_27
; %bb.26:
	v_lshlrev_b32_e32 v3, 1, v0
	v_lshrrev_b32_e32 v4, 4, v0
	v_add_lshl_u32 v3, v4, v3, 2
	ds_read2_b32 v[4:5], v3 offset1:1
	v_mbcnt_lo_u32_b32 v6, -1, 0
	v_mbcnt_hi_u32_b32 v6, -1, v6
	v_and_b32_e32 v7, 15, v6
	v_cmp_ne_u32_e64 s[0:1], 0, v7
	s_waitcnt lgkmcnt(0)
	v_add_u32_e32 v8, v5, v4
	s_nop 1
	v_mov_b32_dpp v9, v8 row_shr:1 row_mask:0xf bank_mask:0xf
	v_cndmask_b32_e64 v9, 0, v9, s[0:1]
	v_add_u32_e32 v8, v9, v8
	v_cmp_lt_u32_e64 s[0:1], 1, v7
	s_nop 0
	v_mov_b32_dpp v9, v8 row_shr:2 row_mask:0xf bank_mask:0xf
	v_cndmask_b32_e64 v9, 0, v9, s[0:1]
	v_add_u32_e32 v8, v8, v9
	v_cmp_lt_u32_e64 s[0:1], 3, v7
	;; [unrolled: 5-line block ×3, first 2 shown]
	s_nop 0
	v_mov_b32_dpp v9, v8 row_shr:8 row_mask:0xf bank_mask:0xf
	v_cndmask_b32_e64 v7, 0, v9, s[0:1]
	v_add_u32_e32 v7, v8, v7
	v_bfe_i32 v9, v6, 4, 1
	v_cmp_lt_u32_e64 s[0:1], 31, v6
	v_mov_b32_dpp v8, v7 row_bcast:15 row_mask:0xf bank_mask:0xf
	v_and_b32_e32 v8, v9, v8
	v_add_u32_e32 v7, v7, v8
	v_and_b32_e32 v9, 64, v6
	s_nop 0
	v_mov_b32_dpp v8, v7 row_bcast:31 row_mask:0xf bank_mask:0xf
	v_cndmask_b32_e64 v8, 0, v8, s[0:1]
	v_add_u32_e32 v7, v7, v8
	v_add_u32_e32 v8, -1, v6
	v_cmp_lt_i32_e64 s[0:1], v8, v9
	v_cndmask_b32_e64 v6, v8, v6, s[0:1]
	v_lshlrev_b32_e32 v6, 2, v6
	ds_bpermute_b32 v6, v6, v7
	v_cmp_eq_u32_e64 s[0:1], 0, v0
	s_waitcnt lgkmcnt(0)
	v_add_u32_e32 v4, v6, v4
	v_cndmask_b32_e64 v2, v4, v2, s[0:1]
	v_add_u32_e32 v4, v2, v5
	ds_write2_b32 v3, v2, v4 offset1:1
.LBB13_27:
	s_or_b64 exec, exec, s[2:3]
	v_cmp_eq_u32_e64 s[0:1], 0, v0
	v_cmp_ne_u32_e64 s[2:3], 0, v0
	v_mov_b32_e32 v25, 0
	s_waitcnt lgkmcnt(0)
	s_barrier
	s_and_saveexec_b64 s[8:9], s[2:3]
	s_cbranch_execz .LBB13_29
; %bb.28:
	v_add_u32_e32 v2, -1, v0
	v_lshrrev_b32_e32 v3, 5, v2
	v_add_lshl_u32 v2, v3, v2, 2
	ds_read_b32 v25, v2
.LBB13_29:
	s_or_b64 exec, exec, s[8:9]
	s_and_saveexec_b64 s[8:9], vcc
	s_cbranch_execz .LBB13_48
; %bb.30:
	v_mov_b32_e32 v9, 0
	ds_read_b32 v2, v9 offset:520
	v_mbcnt_lo_u32_b32 v3, -1, 0
	v_mbcnt_hi_u32_b32 v5, -1, v3
	s_mov_b32 s15, 0
	v_cmp_eq_u32_e64 s[2:3], 0, v5
	s_and_saveexec_b64 s[10:11], s[2:3]
	s_cbranch_execz .LBB13_32
; %bb.31:
	s_add_i32 s14, s6, 64
	s_lshl_b64 s[14:15], s[14:15], 3
	s_add_u32 s14, s12, s14
	s_addc_u32 s15, s13, s15
	v_mov_b32_e32 v3, 1
	s_waitcnt lgkmcnt(0)
	global_store_dwordx2 v9, v[2:3], s[14:15]
.LBB13_32:
	s_or_b64 exec, exec, s[10:11]
	v_xad_u32 v4, v5, -1, s6
	v_add_u32_e32 v8, 64, v4
	v_lshlrev_b64 v[6:7], 3, v[8:9]
	v_mov_b32_e32 v3, s13
	v_add_co_u32_e32 v10, vcc, s12, v6
	v_addc_co_u32_e32 v11, vcc, v3, v7, vcc
	global_load_dwordx2 v[6:7], v[10:11], off glc
	s_waitcnt vmcnt(0)
	v_cmp_eq_u16_sdwa s[14:15], v7, v9 src0_sel:BYTE_0 src1_sel:DWORD
	s_and_saveexec_b64 s[10:11], s[14:15]
	s_cbranch_execz .LBB13_36
; %bb.33:
	s_mov_b64 s[14:15], 0
	v_mov_b32_e32 v3, 0
.LBB13_34:                              ; =>This Inner Loop Header: Depth=1
	global_load_dwordx2 v[6:7], v[10:11], off glc
	s_waitcnt vmcnt(0)
	v_cmp_ne_u16_sdwa s[16:17], v7, v3 src0_sel:BYTE_0 src1_sel:DWORD
	s_or_b64 s[14:15], s[16:17], s[14:15]
	s_andn2_b64 exec, exec, s[14:15]
	s_cbranch_execnz .LBB13_34
; %bb.35:
	s_or_b64 exec, exec, s[14:15]
.LBB13_36:
	s_or_b64 exec, exec, s[10:11]
	v_and_b32_e32 v34, 63, v5
	v_mov_b32_e32 v3, 2
	v_cmp_ne_u32_e32 vcc, 63, v34
	v_cmp_eq_u16_sdwa s[10:11], v7, v3 src0_sel:BYTE_0 src1_sel:DWORD
	v_lshlrev_b64 v[8:9], v5, -1
	v_addc_co_u32_e32 v26, vcc, 0, v5, vcc
	v_and_b32_e32 v10, s11, v9
	v_lshlrev_b32_e32 v26, 2, v26
	v_or_b32_e32 v10, 0x80000000, v10
	ds_bpermute_b32 v28, v26, v6
	v_and_b32_e32 v11, s10, v8
	v_ffbl_b32_e32 v10, v10
	v_add_u32_e32 v10, 32, v10
	v_ffbl_b32_e32 v11, v11
	v_min_u32_e32 v10, v11, v10
	v_add_u32_e32 v27, 1, v5
	v_cmp_le_u32_e32 vcc, v27, v10
	s_waitcnt lgkmcnt(0)
	v_cndmask_b32_e32 v11, 0, v28, vcc
	v_cmp_gt_u32_e32 vcc, 62, v34
	v_add_u32_e32 v6, v11, v6
	v_cndmask_b32_e64 v11, 0, 1, vcc
	v_lshlrev_b32_e32 v11, 1, v11
	v_add_lshl_u32 v28, v11, v5, 2
	ds_bpermute_b32 v11, v28, v6
	v_add_u32_e32 v29, 2, v5
	v_cmp_le_u32_e32 vcc, v29, v10
	v_add_u32_e32 v31, 4, v5
	v_add_u32_e32 v33, 8, v5
	s_waitcnt lgkmcnt(0)
	v_cndmask_b32_e32 v11, 0, v11, vcc
	v_cmp_gt_u32_e32 vcc, 60, v34
	v_add_u32_e32 v6, v6, v11
	v_cndmask_b32_e64 v11, 0, 1, vcc
	v_lshlrev_b32_e32 v11, 2, v11
	v_add_lshl_u32 v30, v11, v5, 2
	ds_bpermute_b32 v11, v30, v6
	v_cmp_le_u32_e32 vcc, v31, v10
	v_add_u32_e32 v36, 16, v5
	v_add_u32_e32 v38, 32, v5
	s_waitcnt lgkmcnt(0)
	v_cndmask_b32_e32 v11, 0, v11, vcc
	v_cmp_gt_u32_e32 vcc, 56, v34
	v_add_u32_e32 v6, v6, v11
	v_cndmask_b32_e64 v11, 0, 1, vcc
	v_lshlrev_b32_e32 v11, 3, v11
	v_add_lshl_u32 v32, v11, v5, 2
	ds_bpermute_b32 v11, v32, v6
	v_cmp_le_u32_e32 vcc, v33, v10
	s_waitcnt lgkmcnt(0)
	v_cndmask_b32_e32 v11, 0, v11, vcc
	v_cmp_gt_u32_e32 vcc, 48, v34
	v_add_u32_e32 v6, v6, v11
	v_cndmask_b32_e64 v11, 0, 1, vcc
	v_lshlrev_b32_e32 v11, 4, v11
	v_add_lshl_u32 v35, v11, v5, 2
	ds_bpermute_b32 v11, v35, v6
	v_cmp_le_u32_e32 vcc, v36, v10
	s_waitcnt lgkmcnt(0)
	v_cndmask_b32_e32 v11, 0, v11, vcc
	v_cmp_gt_u32_e32 vcc, 32, v34
	v_add_u32_e32 v6, v6, v11
	v_cndmask_b32_e64 v11, 0, 1, vcc
	v_lshlrev_b32_e32 v11, 5, v11
	v_add_lshl_u32 v37, v11, v5, 2
	ds_bpermute_b32 v11, v37, v6
	v_cmp_le_u32_e32 vcc, v38, v10
	s_waitcnt lgkmcnt(0)
	v_cndmask_b32_e32 v5, 0, v11, vcc
	v_add_u32_e32 v6, v6, v5
	v_mov_b32_e32 v5, 0
	s_branch .LBB13_38
.LBB13_37:                              ;   in Loop: Header=BB13_38 Depth=1
	s_or_b64 exec, exec, s[10:11]
	v_cmp_eq_u16_sdwa s[10:11], v7, v3 src0_sel:BYTE_0 src1_sel:DWORD
	v_and_b32_e32 v10, s11, v9
	v_or_b32_e32 v10, 0x80000000, v10
	ds_bpermute_b32 v39, v26, v6
	v_and_b32_e32 v11, s10, v8
	v_ffbl_b32_e32 v10, v10
	v_add_u32_e32 v10, 32, v10
	v_ffbl_b32_e32 v11, v11
	v_min_u32_e32 v10, v11, v10
	v_cmp_le_u32_e32 vcc, v27, v10
	s_waitcnt lgkmcnt(0)
	v_cndmask_b32_e32 v11, 0, v39, vcc
	v_add_u32_e32 v6, v11, v6
	ds_bpermute_b32 v11, v28, v6
	v_cmp_le_u32_e32 vcc, v29, v10
	v_subrev_u32_e32 v4, 64, v4
	s_waitcnt lgkmcnt(0)
	v_cndmask_b32_e32 v11, 0, v11, vcc
	v_add_u32_e32 v6, v6, v11
	ds_bpermute_b32 v11, v30, v6
	v_cmp_le_u32_e32 vcc, v31, v10
	s_waitcnt lgkmcnt(0)
	v_cndmask_b32_e32 v11, 0, v11, vcc
	v_add_u32_e32 v6, v6, v11
	ds_bpermute_b32 v11, v32, v6
	v_cmp_le_u32_e32 vcc, v33, v10
	;; [unrolled: 5-line block ×4, first 2 shown]
	s_waitcnt lgkmcnt(0)
	v_cndmask_b32_e32 v10, 0, v11, vcc
	v_add3_u32 v6, v10, v34, v6
.LBB13_38:                              ; =>This Loop Header: Depth=1
                                        ;     Child Loop BB13_41 Depth 2
	v_cmp_ne_u16_sdwa s[10:11], v7, v3 src0_sel:BYTE_0 src1_sel:DWORD
	v_cndmask_b32_e64 v7, 0, 1, s[10:11]
	;;#ASMSTART
	;;#ASMEND
	v_cmp_ne_u32_e32 vcc, 0, v7
	s_cmp_lg_u64 vcc, exec
	v_mov_b32_e32 v34, v6
	s_cbranch_scc1 .LBB13_43
; %bb.39:                               ;   in Loop: Header=BB13_38 Depth=1
	v_lshlrev_b64 v[6:7], 3, v[4:5]
	v_mov_b32_e32 v11, s13
	v_add_co_u32_e32 v10, vcc, s12, v6
	v_addc_co_u32_e32 v11, vcc, v11, v7, vcc
	global_load_dwordx2 v[6:7], v[10:11], off glc
	s_waitcnt vmcnt(0)
	v_cmp_eq_u16_sdwa s[14:15], v7, v5 src0_sel:BYTE_0 src1_sel:DWORD
	s_and_saveexec_b64 s[10:11], s[14:15]
	s_cbranch_execz .LBB13_37
; %bb.40:                               ;   in Loop: Header=BB13_38 Depth=1
	s_mov_b64 s[14:15], 0
.LBB13_41:                              ;   Parent Loop BB13_38 Depth=1
                                        ; =>  This Inner Loop Header: Depth=2
	global_load_dwordx2 v[6:7], v[10:11], off glc
	s_waitcnt vmcnt(0)
	v_cmp_ne_u16_sdwa s[16:17], v7, v5 src0_sel:BYTE_0 src1_sel:DWORD
	s_or_b64 s[14:15], s[16:17], s[14:15]
	s_andn2_b64 exec, exec, s[14:15]
	s_cbranch_execnz .LBB13_41
; %bb.42:                               ;   in Loop: Header=BB13_38 Depth=1
	s_or_b64 exec, exec, s[14:15]
	s_branch .LBB13_37
.LBB13_43:                              ;   in Loop: Header=BB13_38 Depth=1
                                        ; implicit-def: $vgpr6
                                        ; implicit-def: $vgpr7
	s_cbranch_execz .LBB13_38
; %bb.44:
	s_and_saveexec_b64 s[10:11], s[2:3]
	s_cbranch_execz .LBB13_46
; %bb.45:
	s_add_i32 s2, s6, 64
	s_mov_b32 s3, 0
	s_lshl_b64 s[2:3], s[2:3], 3
	s_add_u32 s2, s12, s2
	s_addc_u32 s3, s13, s3
	v_mov_b32_e32 v4, 0
	v_add_u32_e32 v2, v34, v2
	v_mov_b32_e32 v3, 2
	global_store_dwordx2 v4, v[2:3], s[2:3]
.LBB13_46:
	s_or_b64 exec, exec, s[10:11]
	s_and_b64 exec, exec, s[0:1]
	s_cbranch_execz .LBB13_48
; %bb.47:
	v_mov_b32_e32 v2, 0
	ds_write_b32 v2, v34
.LBB13_48:
	s_or_b64 exec, exec, s[8:9]
	v_mov_b32_e32 v2, 0
	s_waitcnt lgkmcnt(0)
	s_barrier
	ds_read_b32 v2, v2
	s_waitcnt lgkmcnt(0)
	v_add3_u32 v2, v25, v16, v2
	v_add_u32_e32 v3, v2, v17
	v_add_u32_e32 v4, v3, v18
	;; [unrolled: 1-line block ×9, first 2 shown]
	s_load_dwordx4 s[8:11], s[4:5], 0x30
	s_branch .LBB13_59
.LBB13_49:
                                        ; implicit-def: $vgpr2_vgpr3_vgpr4_vgpr5_vgpr6_vgpr7_vgpr8_vgpr9_vgpr10_vgpr11
	s_load_dwordx4 s[8:11], s[4:5], 0x30
	s_cbranch_execz .LBB13_59
; %bb.50:
	s_load_dword s2, s[4:5], 0x40
	v_cmp_eq_u32_e32 vcc, 0, v0
	v_cmp_ne_u32_e64 s[0:1], 0, v0
	s_waitcnt lgkmcnt(0)
	s_bitcmp1_b32 s2, 0
	s_cselect_b64 s[2:3], -1, 0
	s_and_b64 s[6:7], vcc, s[2:3]
	s_and_saveexec_b64 s[2:3], s[6:7]
	s_cbranch_execz .LBB13_52
; %bb.51:
	s_load_dword s6, s[8:9], 0x0
	s_waitcnt lgkmcnt(0)
	v_add_u32_e32 v16, s6, v16
.LBB13_52:
	s_or_b64 exec, exec, s[2:3]
	v_add_u32_e32 v2, v17, v16
	v_add3_u32 v2, v2, v18, v19
	v_add3_u32 v2, v2, v12, v13
	;; [unrolled: 1-line block ×4, first 2 shown]
	v_add_lshl_u32 v3, v24, v0, 2
	v_cmp_gt_u32_e64 s[2:3], 64, v0
	ds_write_b32 v3, v2
	s_waitcnt lgkmcnt(0)
	s_barrier
	s_and_saveexec_b64 s[6:7], s[2:3]
	s_cbranch_execz .LBB13_54
; %bb.53:
	v_lshlrev_b32_e32 v3, 1, v0
	v_lshrrev_b32_e32 v4, 4, v0
	v_add_lshl_u32 v3, v4, v3, 2
	ds_read2_b32 v[4:5], v3 offset1:1
	v_mbcnt_lo_u32_b32 v6, -1, 0
	v_mbcnt_hi_u32_b32 v6, -1, v6
	v_and_b32_e32 v7, 15, v6
	v_cmp_ne_u32_e64 s[2:3], 0, v7
	s_waitcnt lgkmcnt(0)
	v_add_u32_e32 v8, v5, v4
	s_nop 1
	v_mov_b32_dpp v9, v8 row_shr:1 row_mask:0xf bank_mask:0xf
	v_cndmask_b32_e64 v9, 0, v9, s[2:3]
	v_add_u32_e32 v8, v9, v8
	v_cmp_lt_u32_e64 s[2:3], 1, v7
	s_nop 0
	v_mov_b32_dpp v9, v8 row_shr:2 row_mask:0xf bank_mask:0xf
	v_cndmask_b32_e64 v9, 0, v9, s[2:3]
	v_add_u32_e32 v8, v8, v9
	v_cmp_lt_u32_e64 s[2:3], 3, v7
	;; [unrolled: 5-line block ×3, first 2 shown]
	s_nop 0
	v_mov_b32_dpp v9, v8 row_shr:8 row_mask:0xf bank_mask:0xf
	v_cndmask_b32_e64 v7, 0, v9, s[2:3]
	v_add_u32_e32 v7, v8, v7
	v_bfe_i32 v9, v6, 4, 1
	v_cmp_lt_u32_e64 s[2:3], 31, v6
	v_mov_b32_dpp v8, v7 row_bcast:15 row_mask:0xf bank_mask:0xf
	v_and_b32_e32 v8, v9, v8
	v_add_u32_e32 v7, v7, v8
	v_and_b32_e32 v9, 64, v6
	s_nop 0
	v_mov_b32_dpp v8, v7 row_bcast:31 row_mask:0xf bank_mask:0xf
	v_cndmask_b32_e64 v8, 0, v8, s[2:3]
	v_add_u32_e32 v7, v7, v8
	v_add_u32_e32 v8, -1, v6
	v_cmp_lt_i32_e64 s[2:3], v8, v9
	v_cndmask_b32_e64 v6, v8, v6, s[2:3]
	v_lshlrev_b32_e32 v6, 2, v6
	ds_bpermute_b32 v6, v6, v7
	s_waitcnt lgkmcnt(0)
	v_add_u32_e32 v4, v6, v4
	v_cndmask_b32_e32 v2, v4, v2, vcc
	v_add_u32_e32 v4, v2, v5
	ds_write2_b32 v3, v2, v4 offset1:1
.LBB13_54:
	s_or_b64 exec, exec, s[6:7]
	v_mov_b32_e32 v2, 0
	s_waitcnt lgkmcnt(0)
	s_barrier
	s_and_saveexec_b64 s[2:3], s[0:1]
	s_cbranch_execz .LBB13_56
; %bb.55:
	v_add_u32_e32 v2, -1, v0
	v_lshrrev_b32_e32 v3, 5, v2
	v_add_lshl_u32 v2, v3, v2, 2
	ds_read_b32 v2, v2
.LBB13_56:
	s_or_b64 exec, exec, s[2:3]
	s_waitcnt lgkmcnt(0)
	v_add_u32_e32 v2, v2, v16
	v_add_u32_e32 v3, v2, v17
	;; [unrolled: 1-line block ×10, first 2 shown]
	s_and_saveexec_b64 s[0:1], vcc
	s_cbranch_execz .LBB13_58
; %bb.57:
	v_mov_b32_e32 v14, 0
	ds_read_b32 v12, v14 offset:520
	v_mov_b32_e32 v13, 2
	s_waitcnt lgkmcnt(0)
	global_store_dwordx2 v14, v[12:13], s[12:13] offset:512
.LBB13_58:
	s_or_b64 exec, exec, s[0:1]
.LBB13_59:
	s_lshl_b64 s[0:1], s[20:21], 3
	s_add_u32 s0, s18, s0
	s_addc_u32 s1, s19, s1
	s_mov_b64 s[2:3], -1
	s_and_b64 vcc, exec, s[22:23]
	v_lshlrev_b32_e32 v12, 3, v0
	s_waitcnt lgkmcnt(0)
	s_barrier
	s_cbranch_vccz .LBB13_61
; %bb.60:
	ds_write2_b64 v1, v[2:3], v[4:5] offset1:1
	ds_write2_b64 v1, v[6:7], v[8:9] offset0:2 offset1:3
	ds_write_b64 v1, v[10:11] offset:32
	s_waitcnt lgkmcnt(0)
	s_barrier
	ds_read2st64_b32 v[14:15], v23 offset1:2
	ds_read2st64_b32 v[18:19], v23 offset0:4 offset1:6
	ds_read2st64_b32 v[28:29], v23 offset0:12 offset1:14
	v_mov_b32_e32 v13, s1
	v_add_co_u32_e32 v38, vcc, s0, v12
	s_waitcnt lgkmcnt(2)
	v_ashrrev_i32_e32 v17, 31, v14
	v_mov_b32_e32 v16, v14
	v_ashrrev_i32_e32 v21, 31, v15
	v_mov_b32_e32 v20, v15
	ds_read2st64_b32 v[14:15], v23 offset0:8 offset1:10
	s_waitcnt lgkmcnt(2)
	v_ashrrev_i32_e32 v25, 31, v18
	v_mov_b32_e32 v24, v18
	v_ashrrev_i32_e32 v27, 31, v19
	v_mov_b32_e32 v26, v19
	s_waitcnt lgkmcnt(0)
	v_ashrrev_i32_e32 v19, 31, v14
	v_mov_b32_e32 v18, v14
	v_ashrrev_i32_e32 v31, 31, v15
	v_mov_b32_e32 v30, v15
	ds_read2st64_b32 v[14:15], v23 offset0:16 offset1:18
	v_addc_co_u32_e32 v13, vcc, 0, v13, vcc
	s_movk_i32 s2, 0x1000
	v_ashrrev_i32_e32 v33, 31, v28
	v_mov_b32_e32 v32, v28
	v_ashrrev_i32_e32 v35, 31, v29
	v_mov_b32_e32 v34, v29
	s_waitcnt lgkmcnt(0)
	v_ashrrev_i32_e32 v29, 31, v14
	v_mov_b32_e32 v28, v14
	v_add_co_u32_e32 v14, vcc, s2, v38
	v_ashrrev_i32_e32 v37, 31, v15
	v_mov_b32_e32 v36, v15
	v_addc_co_u32_e32 v15, vcc, 0, v13, vcc
	global_store_dwordx2 v12, v[16:17], s[0:1]
	global_store_dwordx2 v12, v[20:21], s[0:1] offset:1024
	global_store_dwordx2 v12, v[24:25], s[0:1] offset:2048
	;; [unrolled: 1-line block ×3, first 2 shown]
	global_store_dwordx2 v[14:15], v[18:19], off
	global_store_dwordx2 v[14:15], v[30:31], off offset:1024
	global_store_dwordx2 v[14:15], v[32:33], off offset:2048
	;; [unrolled: 1-line block ×3, first 2 shown]
	v_add_co_u32_e32 v14, vcc, 0x2000, v38
	v_addc_co_u32_e32 v15, vcc, 0, v13, vcc
	global_store_dwordx2 v[14:15], v[28:29], off
	global_store_dwordx2 v[14:15], v[36:37], off offset:1024
	s_mov_b64 s[2:3], 0
.LBB13_61:
	s_andn2_b64 vcc, exec, s[2:3]
	s_cbranch_vccnz .LBB13_117
; %bb.62:
	ds_write2_b64 v1, v[2:3], v[4:5] offset1:1
	ds_write2_b64 v1, v[6:7], v[8:9] offset0:2 offset1:3
	ds_write_b64 v1, v[10:11] offset:32
	s_waitcnt lgkmcnt(0)
	s_barrier
	ds_read2st64_b32 v[2:3], v23 offset1:2
	ds_read2st64_b32 v[6:7], v23 offset0:4 offset1:6
	ds_read2st64_b32 v[4:5], v23 offset0:8 offset1:10
	;; [unrolled: 1-line block ×4, first 2 shown]
	v_mov_b32_e32 v13, s1
	v_add_co_u32_e32 v12, vcc, s0, v12
	v_addc_co_u32_e32 v13, vcc, 0, v13, vcc
	v_mov_b32_e32 v1, 0
	v_cmp_gt_u32_e32 vcc, s24, v0
	s_and_saveexec_b64 s[0:1], vcc
	s_cbranch_execz .LBB13_64
; %bb.63:
	s_waitcnt lgkmcnt(4)
	v_ashrrev_i32_e32 v15, 31, v2
	v_mov_b32_e32 v14, v2
	global_store_dwordx2 v[12:13], v[14:15], off
.LBB13_64:
	s_or_b64 exec, exec, s[0:1]
	v_or_b32_e32 v14, 0x80, v0
	v_cmp_gt_u32_e32 vcc, s24, v14
	s_and_saveexec_b64 s[0:1], vcc
	s_cbranch_execz .LBB13_66
; %bb.65:
	s_waitcnt lgkmcnt(4)
	v_ashrrev_i32_e32 v15, 31, v3
	v_mov_b32_e32 v14, v3
	global_store_dwordx2 v[12:13], v[14:15], off offset:1024
.LBB13_66:
	s_or_b64 exec, exec, s[0:1]
	v_or_b32_e32 v14, 0x100, v0
	v_cmp_gt_u32_e32 vcc, s24, v14
	s_and_saveexec_b64 s[0:1], vcc
	s_cbranch_execz .LBB13_68
; %bb.67:
	s_waitcnt lgkmcnt(3)
	v_ashrrev_i32_e32 v15, 31, v6
	v_mov_b32_e32 v14, v6
	global_store_dwordx2 v[12:13], v[14:15], off offset:2048
.LBB13_68:
	;; [unrolled: 11-line block ×3, first 2 shown]
	s_or_b64 exec, exec, s[0:1]
	v_or_b32_e32 v14, 0x200, v0
	v_cmp_gt_u32_e32 vcc, s24, v14
	s_and_saveexec_b64 s[0:1], vcc
	s_cbranch_execz .LBB13_72
; %bb.71:
	v_add_co_u32_e32 v16, vcc, 0x1000, v12
	s_waitcnt lgkmcnt(2)
	v_ashrrev_i32_e32 v15, 31, v4
	v_mov_b32_e32 v14, v4
	v_addc_co_u32_e32 v17, vcc, 0, v13, vcc
	global_store_dwordx2 v[16:17], v[14:15], off
.LBB13_72:
	s_or_b64 exec, exec, s[0:1]
	v_or_b32_e32 v14, 0x280, v0
	v_cmp_gt_u32_e32 vcc, s24, v14
	s_and_saveexec_b64 s[0:1], vcc
	s_cbranch_execz .LBB13_74
; %bb.73:
	v_add_co_u32_e32 v16, vcc, 0x1000, v12
	s_waitcnt lgkmcnt(2)
	v_ashrrev_i32_e32 v15, 31, v5
	v_mov_b32_e32 v14, v5
	v_addc_co_u32_e32 v17, vcc, 0, v13, vcc
	global_store_dwordx2 v[16:17], v[14:15], off offset:1024
.LBB13_74:
	s_or_b64 exec, exec, s[0:1]
	v_or_b32_e32 v14, 0x300, v0
	v_cmp_gt_u32_e32 vcc, s24, v14
	s_and_saveexec_b64 s[0:1], vcc
	s_cbranch_execz .LBB13_76
; %bb.75:
	v_add_co_u32_e32 v16, vcc, 0x1000, v12
	s_waitcnt lgkmcnt(1)
	v_ashrrev_i32_e32 v15, 31, v8
	v_mov_b32_e32 v14, v8
	v_addc_co_u32_e32 v17, vcc, 0, v13, vcc
	global_store_dwordx2 v[16:17], v[14:15], off offset:2048
.LBB13_76:
	;; [unrolled: 13-line block ×3, first 2 shown]
	s_or_b64 exec, exec, s[0:1]
	v_or_b32_e32 v14, 0x400, v0
	v_cmp_gt_u32_e32 vcc, s24, v14
	s_and_saveexec_b64 s[0:1], vcc
	s_cbranch_execz .LBB13_80
; %bb.79:
	v_add_co_u32_e32 v16, vcc, 0x2000, v12
	s_waitcnt lgkmcnt(0)
	v_ashrrev_i32_e32 v15, 31, v10
	v_mov_b32_e32 v14, v10
	v_addc_co_u32_e32 v17, vcc, 0, v13, vcc
	global_store_dwordx2 v[16:17], v[14:15], off
.LBB13_80:
	s_or_b64 exec, exec, s[0:1]
	v_or_b32_e32 v14, 0x480, v0
	v_cmp_gt_u32_e32 vcc, s24, v14
	s_and_saveexec_b64 s[0:1], vcc
	s_cbranch_execz .LBB13_82
; %bb.81:
	v_add_co_u32_e32 v12, vcc, 0x2000, v12
	s_waitcnt lgkmcnt(0)
	v_ashrrev_i32_e32 v15, 31, v11
	v_mov_b32_e32 v14, v11
	v_addc_co_u32_e32 v13, vcc, 0, v13, vcc
	global_store_dwordx2 v[12:13], v[14:15], off offset:1024
.LBB13_82:
	s_or_b64 exec, exec, s[0:1]
	s_load_dword s0, s[4:5], 0x40
	s_waitcnt lgkmcnt(0)
	s_bfe_u32 s0, s0, 0x10008
	s_cmp_eq_u32 s0, 0
	s_cbranch_scc1 .LBB13_117
; %bb.83:
	s_add_u32 s0, s24, -1
	s_addc_u32 s1, s25, -1
	s_add_u32 s2, 0, 0x99986000
	s_addc_u32 s3, 0, 0x59
	s_add_i32 s3, s3, 0x19999940
	s_mul_hi_u32 s7, s2, -10
	s_sub_i32 s7, s7, s2
	s_mul_i32 s8, s3, -10
	s_mul_i32 s4, s2, -10
	s_add_i32 s7, s7, s8
	s_mul_hi_u32 s5, s3, s4
	s_mul_i32 s6, s3, s4
	s_mul_i32 s9, s2, s7
	s_mul_hi_u32 s4, s2, s4
	s_mul_hi_u32 s8, s2, s7
	s_add_u32 s4, s4, s9
	s_addc_u32 s8, 0, s8
	s_add_u32 s4, s4, s6
	s_mul_hi_u32 s9, s3, s7
	s_addc_u32 s4, s8, s5
	s_addc_u32 s5, s9, 0
	s_mul_i32 s6, s3, s7
	s_add_u32 s4, s4, s6
	v_mov_b32_e32 v12, s4
	s_addc_u32 s5, 0, s5
	v_add_co_u32_e32 v12, vcc, s2, v12
	s_cmp_lg_u64 vcc, 0
	s_addc_u32 s2, s3, s5
	v_readfirstlane_b32 s5, v12
	s_mul_i32 s4, s0, s2
	s_mul_hi_u32 s6, s0, s5
	s_mul_hi_u32 s3, s0, s2
	s_add_u32 s4, s6, s4
	s_addc_u32 s3, 0, s3
	s_mul_hi_u32 s7, s1, s5
	s_mul_i32 s5, s1, s5
	s_add_u32 s4, s4, s5
	s_mul_hi_u32 s6, s1, s2
	s_addc_u32 s3, s3, s7
	s_addc_u32 s4, s6, 0
	s_mul_i32 s2, s1, s2
	s_add_u32 s2, s3, s2
	s_addc_u32 s3, 0, s4
	s_add_u32 s4, s2, 1
	s_addc_u32 s5, s3, 0
	s_add_u32 s6, s2, 2
	s_mul_i32 s8, s3, 10
	s_mul_hi_u32 s9, s2, 10
	s_addc_u32 s7, s3, 0
	s_add_i32 s9, s9, s8
	s_mul_i32 s8, s2, 10
	v_mov_b32_e32 v12, s8
	v_sub_co_u32_e32 v12, vcc, s0, v12
	s_cmp_lg_u64 vcc, 0
	s_subb_u32 s8, s1, s9
	v_subrev_co_u32_e32 v13, vcc, 10, v12
	s_cmp_lg_u64 vcc, 0
	s_subb_u32 s9, s8, 0
	v_readfirstlane_b32 s12, v13
	s_cmp_gt_u32 s12, 9
	s_cselect_b32 s12, -1, 0
	s_cmp_eq_u32 s9, 0
	s_cselect_b32 s9, s12, -1
	s_cmp_lg_u32 s9, 0
	s_cselect_b32 s4, s6, s4
	v_readfirstlane_b32 s6, v12
	s_cselect_b32 s5, s7, s5
	s_cmp_gt_u32 s6, 9
	s_cselect_b32 s6, -1, 0
	s_cmp_eq_u32 s8, 0
	s_cselect_b32 s6, s6, -1
	s_cmp_lg_u32 s6, 0
	s_cselect_b32 s3, s5, s3
	s_cselect_b32 s2, s4, s2
	v_cmp_eq_u64_e32 vcc, s[2:3], v[0:1]
	s_and_saveexec_b64 s[2:3], vcc
	s_cbranch_execz .LBB13_117
; %bb.84:
	v_mul_hi_u32_u24_e32 v1, 10, v0
	v_mov_b32_e32 v12, s1
	v_sub_co_u32_e32 v0, vcc, s0, v22
	v_subb_co_u32_e32 v1, vcc, v12, v1, vcc
	v_cmp_lt_i64_e32 vcc, 4, v[0:1]
	s_and_saveexec_b64 s[0:1], vcc
	s_xor_b64 s[0:1], exec, s[0:1]
	s_cbranch_execz .LBB13_102
; %bb.85:
	v_cmp_lt_i64_e32 vcc, 6, v[0:1]
	s_and_saveexec_b64 s[2:3], vcc
	s_xor_b64 s[2:3], exec, s[2:3]
	s_cbranch_execz .LBB13_95
; %bb.86:
	;; [unrolled: 5-line block ×4, first 2 shown]
	v_mov_b32_e32 v0, 0
	global_store_dword v0, v11, s[10:11]
                                        ; implicit-def: $vgpr10_vgpr11
.LBB13_89:
	s_andn2_saveexec_b64 s[6:7], s[6:7]
	s_cbranch_execz .LBB13_91
; %bb.90:
	v_mov_b32_e32 v0, 0
	global_store_dword v0, v10, s[10:11]
.LBB13_91:
	s_or_b64 exec, exec, s[6:7]
                                        ; implicit-def: $vgpr8_vgpr9
.LBB13_92:
	s_andn2_saveexec_b64 s[4:5], s[4:5]
	s_cbranch_execz .LBB13_94
; %bb.93:
	v_mov_b32_e32 v0, 0
	global_store_dword v0, v9, s[10:11]
.LBB13_94:
	s_or_b64 exec, exec, s[4:5]
                                        ; implicit-def: $vgpr4_vgpr5
                                        ; implicit-def: $vgpr0_vgpr1
                                        ; implicit-def: $vgpr8_vgpr9
.LBB13_95:
	s_andn2_saveexec_b64 s[2:3], s[2:3]
	s_cbranch_execz .LBB13_101
; %bb.96:
	v_cmp_lt_i64_e32 vcc, 5, v[0:1]
	s_and_saveexec_b64 s[4:5], vcc
	s_xor_b64 s[4:5], exec, s[4:5]
	s_cbranch_execz .LBB13_98
; %bb.97:
	v_mov_b32_e32 v0, 0
	global_store_dword v0, v8, s[10:11]
                                        ; implicit-def: $vgpr4_vgpr5
.LBB13_98:
	s_andn2_saveexec_b64 s[4:5], s[4:5]
	s_cbranch_execz .LBB13_100
; %bb.99:
	v_mov_b32_e32 v0, 0
	global_store_dword v0, v5, s[10:11]
.LBB13_100:
	s_or_b64 exec, exec, s[4:5]
.LBB13_101:
	s_or_b64 exec, exec, s[2:3]
                                        ; implicit-def: $vgpr0_vgpr1
                                        ; implicit-def: $vgpr6_vgpr7
                                        ; implicit-def: $vgpr2_vgpr3
                                        ; implicit-def: $vgpr4_vgpr5
.LBB13_102:
	s_andn2_saveexec_b64 s[0:1], s[0:1]
	s_cbranch_execz .LBB13_117
; %bb.103:
	v_cmp_lt_i64_e32 vcc, 2, v[0:1]
	s_and_saveexec_b64 s[0:1], vcc
	s_xor_b64 s[0:1], exec, s[0:1]
	s_cbranch_execz .LBB13_109
; %bb.104:
	v_cmp_lt_i64_e32 vcc, 3, v[0:1]
	s_and_saveexec_b64 s[2:3], vcc
	s_xor_b64 s[2:3], exec, s[2:3]
	s_cbranch_execz .LBB13_106
; %bb.105:
	v_mov_b32_e32 v0, 0
	global_store_dword v0, v4, s[10:11]
                                        ; implicit-def: $vgpr6_vgpr7
.LBB13_106:
	s_andn2_saveexec_b64 s[2:3], s[2:3]
	s_cbranch_execz .LBB13_108
; %bb.107:
	v_mov_b32_e32 v0, 0
	global_store_dword v0, v7, s[10:11]
.LBB13_108:
	s_or_b64 exec, exec, s[2:3]
                                        ; implicit-def: $vgpr0_vgpr1
                                        ; implicit-def: $vgpr6_vgpr7
                                        ; implicit-def: $vgpr2_vgpr3
.LBB13_109:
	s_andn2_saveexec_b64 s[0:1], s[0:1]
	s_cbranch_execz .LBB13_117
; %bb.110:
	v_cmp_lt_i64_e32 vcc, 1, v[0:1]
	s_and_saveexec_b64 s[0:1], vcc
	s_xor_b64 s[0:1], exec, s[0:1]
	s_cbranch_execz .LBB13_112
; %bb.111:
	v_mov_b32_e32 v0, 0
	global_store_dword v0, v6, s[10:11]
                                        ; implicit-def: $vgpr2_vgpr3
                                        ; implicit-def: $vgpr0_vgpr1
.LBB13_112:
	s_andn2_saveexec_b64 s[0:1], s[0:1]
	s_cbranch_execz .LBB13_117
; %bb.113:
	v_cmp_ne_u64_e32 vcc, 1, v[0:1]
	s_and_saveexec_b64 s[0:1], vcc
	s_xor_b64 s[0:1], exec, s[0:1]
	s_cbranch_execz .LBB13_115
; %bb.114:
	v_mov_b32_e32 v0, 0
	global_store_dword v0, v2, s[10:11]
                                        ; implicit-def: $vgpr2_vgpr3
.LBB13_115:
	s_andn2_saveexec_b64 s[0:1], s[0:1]
	s_cbranch_execz .LBB13_117
; %bb.116:
	v_mov_b32_e32 v0, 0
	global_store_dword v0, v3, s[10:11]
.LBB13_117:
	s_endpgm
	.section	.rodata,"a",@progbits
	.p2align	6, 0x0
	.amdhsa_kernel _ZN7rocprim17ROCPRIM_304000_NS6detail20lookback_scan_kernelILNS1_25lookback_scan_determinismE0ELb0ENS1_19wrapped_scan_configINS0_14default_configEiEEPKiPlSt4plusIvEiiNS1_19lookback_scan_stateIiLb0ELb1EEEEEvT2_T3_mT5_T4_T7_jPT6_SK_bb
		.amdhsa_group_segment_fixed_size 5120
		.amdhsa_private_segment_fixed_size 0
		.amdhsa_kernarg_size 68
		.amdhsa_user_sgpr_count 6
		.amdhsa_user_sgpr_private_segment_buffer 1
		.amdhsa_user_sgpr_dispatch_ptr 0
		.amdhsa_user_sgpr_queue_ptr 0
		.amdhsa_user_sgpr_kernarg_segment_ptr 1
		.amdhsa_user_sgpr_dispatch_id 0
		.amdhsa_user_sgpr_flat_scratch_init 0
		.amdhsa_user_sgpr_kernarg_preload_length 0
		.amdhsa_user_sgpr_kernarg_preload_offset 0
		.amdhsa_user_sgpr_private_segment_size 0
		.amdhsa_uses_dynamic_stack 0
		.amdhsa_system_sgpr_private_segment_wavefront_offset 0
		.amdhsa_system_sgpr_workgroup_id_x 1
		.amdhsa_system_sgpr_workgroup_id_y 0
		.amdhsa_system_sgpr_workgroup_id_z 0
		.amdhsa_system_sgpr_workgroup_info 0
		.amdhsa_system_vgpr_workitem_id 0
		.amdhsa_next_free_vgpr 40
		.amdhsa_next_free_sgpr 26
		.amdhsa_accum_offset 40
		.amdhsa_reserve_vcc 1
		.amdhsa_reserve_flat_scratch 0
		.amdhsa_float_round_mode_32 0
		.amdhsa_float_round_mode_16_64 0
		.amdhsa_float_denorm_mode_32 3
		.amdhsa_float_denorm_mode_16_64 3
		.amdhsa_dx10_clamp 1
		.amdhsa_ieee_mode 1
		.amdhsa_fp16_overflow 0
		.amdhsa_tg_split 0
		.amdhsa_exception_fp_ieee_invalid_op 0
		.amdhsa_exception_fp_denorm_src 0
		.amdhsa_exception_fp_ieee_div_zero 0
		.amdhsa_exception_fp_ieee_overflow 0
		.amdhsa_exception_fp_ieee_underflow 0
		.amdhsa_exception_fp_ieee_inexact 0
		.amdhsa_exception_int_div_zero 0
	.end_amdhsa_kernel
	.section	.text._ZN7rocprim17ROCPRIM_304000_NS6detail20lookback_scan_kernelILNS1_25lookback_scan_determinismE0ELb0ENS1_19wrapped_scan_configINS0_14default_configEiEEPKiPlSt4plusIvEiiNS1_19lookback_scan_stateIiLb0ELb1EEEEEvT2_T3_mT5_T4_T7_jPT6_SK_bb,"axG",@progbits,_ZN7rocprim17ROCPRIM_304000_NS6detail20lookback_scan_kernelILNS1_25lookback_scan_determinismE0ELb0ENS1_19wrapped_scan_configINS0_14default_configEiEEPKiPlSt4plusIvEiiNS1_19lookback_scan_stateIiLb0ELb1EEEEEvT2_T3_mT5_T4_T7_jPT6_SK_bb,comdat
.Lfunc_end13:
	.size	_ZN7rocprim17ROCPRIM_304000_NS6detail20lookback_scan_kernelILNS1_25lookback_scan_determinismE0ELb0ENS1_19wrapped_scan_configINS0_14default_configEiEEPKiPlSt4plusIvEiiNS1_19lookback_scan_stateIiLb0ELb1EEEEEvT2_T3_mT5_T4_T7_jPT6_SK_bb, .Lfunc_end13-_ZN7rocprim17ROCPRIM_304000_NS6detail20lookback_scan_kernelILNS1_25lookback_scan_determinismE0ELb0ENS1_19wrapped_scan_configINS0_14default_configEiEEPKiPlSt4plusIvEiiNS1_19lookback_scan_stateIiLb0ELb1EEEEEvT2_T3_mT5_T4_T7_jPT6_SK_bb
                                        ; -- End function
	.section	.AMDGPU.csdata,"",@progbits
; Kernel info:
; codeLenInByte = 4600
; NumSgprs: 30
; NumVgprs: 40
; NumAgprs: 0
; TotalNumVgprs: 40
; ScratchSize: 0
; MemoryBound: 0
; FloatMode: 240
; IeeeMode: 1
; LDSByteSize: 5120 bytes/workgroup (compile time only)
; SGPRBlocks: 3
; VGPRBlocks: 4
; NumSGPRsForWavesPerEU: 30
; NumVGPRsForWavesPerEU: 40
; AccumOffset: 40
; Occupancy: 6
; WaveLimiterHint : 1
; COMPUTE_PGM_RSRC2:SCRATCH_EN: 0
; COMPUTE_PGM_RSRC2:USER_SGPR: 6
; COMPUTE_PGM_RSRC2:TRAP_HANDLER: 0
; COMPUTE_PGM_RSRC2:TGID_X_EN: 1
; COMPUTE_PGM_RSRC2:TGID_Y_EN: 0
; COMPUTE_PGM_RSRC2:TGID_Z_EN: 0
; COMPUTE_PGM_RSRC2:TIDIG_COMP_CNT: 0
; COMPUTE_PGM_RSRC3_GFX90A:ACCUM_OFFSET: 9
; COMPUTE_PGM_RSRC3_GFX90A:TG_SPLIT: 0
	.section	.text._ZN7rocprim17ROCPRIM_304000_NS6detail18single_scan_kernelILb0ENS1_19wrapped_scan_configINS0_14default_configEiEEPKiPlSt4plusIvEiiEEvT1_mT4_T2_T3_,"axG",@progbits,_ZN7rocprim17ROCPRIM_304000_NS6detail18single_scan_kernelILb0ENS1_19wrapped_scan_configINS0_14default_configEiEEPKiPlSt4plusIvEiiEEvT1_mT4_T2_T3_,comdat
	.protected	_ZN7rocprim17ROCPRIM_304000_NS6detail18single_scan_kernelILb0ENS1_19wrapped_scan_configINS0_14default_configEiEEPKiPlSt4plusIvEiiEEvT1_mT4_T2_T3_ ; -- Begin function _ZN7rocprim17ROCPRIM_304000_NS6detail18single_scan_kernelILb0ENS1_19wrapped_scan_configINS0_14default_configEiEEPKiPlSt4plusIvEiiEEvT1_mT4_T2_T3_
	.globl	_ZN7rocprim17ROCPRIM_304000_NS6detail18single_scan_kernelILb0ENS1_19wrapped_scan_configINS0_14default_configEiEEPKiPlSt4plusIvEiiEEvT1_mT4_T2_T3_
	.p2align	8
	.type	_ZN7rocprim17ROCPRIM_304000_NS6detail18single_scan_kernelILb0ENS1_19wrapped_scan_configINS0_14default_configEiEEPKiPlSt4plusIvEiiEEvT1_mT4_T2_T3_,@function
_ZN7rocprim17ROCPRIM_304000_NS6detail18single_scan_kernelILb0ENS1_19wrapped_scan_configINS0_14default_configEiEEPKiPlSt4plusIvEiiEEvT1_mT4_T2_T3_: ; @_ZN7rocprim17ROCPRIM_304000_NS6detail18single_scan_kernelILb0ENS1_19wrapped_scan_configINS0_14default_configEiEEPKiPlSt4plusIvEiiEEvT1_mT4_T2_T3_
; %bb.0:
	s_load_dwordx4 s[20:23], s[4:5], 0x0
	v_lshlrev_b32_e32 v14, 2, v0
	s_waitcnt lgkmcnt(0)
	s_load_dword s8, s[20:21], 0x0
	v_mov_b32_e32 v1, s21
	v_add_co_u32_e32 v12, vcc, s20, v14
	v_addc_co_u32_e32 v13, vcc, 0, v1, vcc
	s_waitcnt lgkmcnt(0)
	s_mov_b32 s9, s8
	s_mov_b32 s10, s8
	;; [unrolled: 1-line block ×9, first 2 shown]
	v_pk_mov_b32 v[2:3], s[8:9], s[8:9] op_sel:[0,1]
	v_cmp_gt_u32_e64 s[0:1], s22, v0
	v_pk_mov_b32 v[4:5], s[10:11], s[10:11] op_sel:[0,1]
	v_pk_mov_b32 v[6:7], s[12:13], s[12:13] op_sel:[0,1]
	;; [unrolled: 1-line block ×4, first 2 shown]
	v_mov_b32_e32 v1, s8
	s_and_saveexec_b64 s[2:3], s[0:1]
	s_cbranch_execz .LBB14_2
; %bb.1:
	global_load_dword v1, v[12:13], off
	v_pk_mov_b32 v[2:3], s[8:9], s[8:9] op_sel:[0,1]
	v_pk_mov_b32 v[4:5], s[10:11], s[10:11] op_sel:[0,1]
	;; [unrolled: 1-line block ×5, first 2 shown]
                                        ; kill: def $vgpr2 killed $vgpr1 killed $exec
.LBB14_2:
	s_or_b64 exec, exec, s[2:3]
	v_or_b32_e32 v2, 0x80, v0
	v_cmp_gt_u32_e64 s[2:3], s22, v2
	s_and_saveexec_b64 s[6:7], s[2:3]
	s_cbranch_execz .LBB14_4
; %bb.3:
	global_load_dword v3, v[12:13], off offset:512
.LBB14_4:
	s_or_b64 exec, exec, s[6:7]
	v_or_b32_e32 v2, 0x100, v0
	v_cmp_gt_u32_e64 s[20:21], s22, v2
	s_and_saveexec_b64 s[6:7], s[20:21]
	s_cbranch_execz .LBB14_6
; %bb.5:
	global_load_dword v4, v[12:13], off offset:1024
.LBB14_6:
	;; [unrolled: 8-line block ×7, first 2 shown]
	s_or_b64 exec, exec, s[6:7]
	v_or_b32_e32 v2, 0x400, v0
	v_cmp_gt_u32_e64 s[6:7], s22, v2
	s_and_saveexec_b64 s[14:15], s[6:7]
	s_cbranch_execz .LBB14_18
; %bb.17:
	v_add_co_u32_e32 v16, vcc, 0x1000, v12
	v_addc_co_u32_e32 v17, vcc, 0, v13, vcc
	global_load_dword v10, v[16:17], off
.LBB14_18:
	s_or_b64 exec, exec, s[14:15]
	v_or_b32_e32 v2, 0x480, v0
	v_cmp_gt_u32_e64 s[14:15], s22, v2
	s_and_saveexec_b64 s[22:23], s[14:15]
	s_cbranch_execz .LBB14_20
; %bb.19:
	v_add_co_u32_e32 v12, vcc, 0x1000, v12
	v_addc_co_u32_e32 v13, vcc, 0, v13, vcc
	global_load_dword v11, v[12:13], off offset:512
.LBB14_20:
	s_or_b64 exec, exec, s[22:23]
	s_waitcnt vmcnt(0)
	ds_write2st64_b32 v14, v1, v3 offset1:2
	ds_write2st64_b32 v14, v4, v5 offset0:4 offset1:6
	ds_write2st64_b32 v14, v6, v7 offset0:8 offset1:10
	;; [unrolled: 1-line block ×4, first 2 shown]
	v_mad_u32_u24 v1, v0, 36, v14
	s_waitcnt lgkmcnt(0)
	s_barrier
	ds_read2_b64 v[6:9], v1 offset1:1
	ds_read2_b64 v[2:5], v1 offset0:2 offset1:3
	ds_read_b64 v[10:11], v1 offset:32
	v_lshrrev_b32_e32 v12, 3, v0
	v_and_b32_e32 v12, 12, v12
	s_waitcnt lgkmcnt(2)
	v_add_u32_e32 v1, v7, v6
	v_add3_u32 v1, v1, v8, v9
	s_waitcnt lgkmcnt(1)
	v_add3_u32 v1, v1, v2, v3
	v_add3_u32 v1, v1, v4, v5
	s_waitcnt lgkmcnt(0)
	v_add3_u32 v1, v1, v10, v11
	v_add_u32_e32 v12, v14, v12
	v_cmp_gt_u32_e32 vcc, 64, v0
	s_barrier
	ds_write_b32 v12, v1
	s_waitcnt lgkmcnt(0)
	s_barrier
	s_and_saveexec_b64 s[22:23], vcc
	s_cbranch_execz .LBB14_22
; %bb.21:
	v_lshlrev_b32_e32 v12, 1, v0
	v_lshrrev_b32_e32 v13, 4, v0
	v_add_lshl_u32 v15, v13, v12, 2
	ds_read2_b32 v[12:13], v15 offset1:1
	v_mbcnt_lo_u32_b32 v16, -1, 0
	v_mbcnt_hi_u32_b32 v16, -1, v16
	v_and_b32_e32 v17, 15, v16
	v_cmp_ne_u32_e32 vcc, 0, v17
	s_waitcnt lgkmcnt(0)
	v_add_u32_e32 v18, v13, v12
	s_nop 1
	v_mov_b32_dpp v19, v18 row_shr:1 row_mask:0xf bank_mask:0xf
	v_cndmask_b32_e32 v19, 0, v19, vcc
	v_add_u32_e32 v18, v19, v18
	v_cmp_lt_u32_e32 vcc, 1, v17
	s_nop 0
	v_mov_b32_dpp v19, v18 row_shr:2 row_mask:0xf bank_mask:0xf
	v_cndmask_b32_e32 v19, 0, v19, vcc
	v_add_u32_e32 v18, v18, v19
	v_cmp_lt_u32_e32 vcc, 3, v17
	;; [unrolled: 5-line block ×3, first 2 shown]
	s_nop 0
	v_mov_b32_dpp v19, v18 row_shr:8 row_mask:0xf bank_mask:0xf
	v_cndmask_b32_e32 v17, 0, v19, vcc
	v_add_u32_e32 v17, v18, v17
	v_bfe_i32 v19, v16, 4, 1
	v_cmp_lt_u32_e32 vcc, 31, v16
	v_mov_b32_dpp v18, v17 row_bcast:15 row_mask:0xf bank_mask:0xf
	v_and_b32_e32 v18, v19, v18
	v_add_u32_e32 v17, v17, v18
	v_and_b32_e32 v19, 64, v16
	s_nop 0
	v_mov_b32_dpp v18, v17 row_bcast:31 row_mask:0xf bank_mask:0xf
	v_cndmask_b32_e32 v18, 0, v18, vcc
	v_add_u32_e32 v17, v17, v18
	v_add_u32_e32 v18, -1, v16
	v_cmp_lt_i32_e32 vcc, v18, v19
	v_cndmask_b32_e32 v16, v18, v16, vcc
	v_lshlrev_b32_e32 v16, 2, v16
	ds_bpermute_b32 v16, v16, v17
	v_cmp_eq_u32_e32 vcc, 0, v0
	s_waitcnt lgkmcnt(0)
	v_add_u32_e32 v12, v16, v12
	v_cndmask_b32_e32 v1, v12, v1, vcc
	v_add_u32_e32 v12, v1, v13
	ds_write2_b32 v15, v1, v12 offset1:1
.LBB14_22:
	s_or_b64 exec, exec, s[22:23]
	v_mul_u32_u24_e32 v1, 36, v0
	v_cmp_ne_u32_e32 vcc, 0, v0
	v_mov_b32_e32 v12, 0
	s_waitcnt lgkmcnt(0)
	s_barrier
	s_and_saveexec_b64 s[22:23], vcc
	s_cbranch_execz .LBB14_24
; %bb.23:
	v_add_u32_e32 v12, -1, v0
	v_lshrrev_b32_e32 v13, 5, v12
	v_add_lshl_u32 v12, v13, v12, 2
	ds_read_b32 v12, v12
.LBB14_24:
	s_or_b64 exec, exec, s[22:23]
	s_waitcnt lgkmcnt(0)
	v_add_u32_e32 v6, v12, v6
	v_add_u32_e32 v7, v6, v7
	;; [unrolled: 1-line block ×11, first 2 shown]
	s_barrier
	ds_write2_b64 v1, v[6:7], v[8:9] offset1:1
	ds_write2_b64 v1, v[2:3], v[4:5] offset0:2 offset1:3
	ds_write_b64 v1, v[10:11] offset:32
	s_waitcnt lgkmcnt(0)
	s_barrier
	ds_read2st64_b32 v[10:11], v14 offset0:2 offset1:4
	ds_read2st64_b32 v[8:9], v14 offset0:6 offset1:8
	;; [unrolled: 1-line block ×4, first 2 shown]
	ds_read_b32 v2, v14 offset:4608
	s_load_dwordx2 s[4:5], s[4:5], 0x18
	v_lshlrev_b32_e32 v0, 3, v0
	s_waitcnt lgkmcnt(0)
	v_mov_b32_e32 v1, s5
	v_add_co_u32_e32 v0, vcc, s4, v0
	v_addc_co_u32_e32 v1, vcc, 0, v1, vcc
	s_and_saveexec_b64 s[4:5], s[0:1]
	s_cbranch_execnz .LBB14_35
; %bb.25:
	s_or_b64 exec, exec, s[4:5]
	s_and_saveexec_b64 s[0:1], s[2:3]
	s_cbranch_execnz .LBB14_36
.LBB14_26:
	s_or_b64 exec, exec, s[0:1]
	s_and_saveexec_b64 s[0:1], s[20:21]
	s_cbranch_execnz .LBB14_37
.LBB14_27:
	s_or_b64 exec, exec, s[0:1]
	s_and_saveexec_b64 s[0:1], s[10:11]
	s_cbranch_execnz .LBB14_38
.LBB14_28:
	s_or_b64 exec, exec, s[0:1]
	s_and_saveexec_b64 s[0:1], s[18:19]
	s_cbranch_execnz .LBB14_39
.LBB14_29:
	s_or_b64 exec, exec, s[0:1]
	s_and_saveexec_b64 s[0:1], s[16:17]
	s_cbranch_execnz .LBB14_40
.LBB14_30:
	s_or_b64 exec, exec, s[0:1]
	s_and_saveexec_b64 s[0:1], s[12:13]
	s_cbranch_execnz .LBB14_41
.LBB14_31:
	s_or_b64 exec, exec, s[0:1]
	s_and_saveexec_b64 s[0:1], s[8:9]
	s_cbranch_execnz .LBB14_42
.LBB14_32:
	s_or_b64 exec, exec, s[0:1]
	s_and_saveexec_b64 s[0:1], s[6:7]
	s_cbranch_execnz .LBB14_43
.LBB14_33:
	s_or_b64 exec, exec, s[0:1]
	s_and_saveexec_b64 s[0:1], s[14:15]
	s_cbranch_execnz .LBB14_44
.LBB14_34:
	s_endpgm
.LBB14_35:
	ds_read_b32 v12, v14
	s_waitcnt lgkmcnt(0)
	v_ashrrev_i32_e32 v13, 31, v12
	global_store_dwordx2 v[0:1], v[12:13], off
	s_or_b64 exec, exec, s[4:5]
	s_and_saveexec_b64 s[0:1], s[2:3]
	s_cbranch_execz .LBB14_26
.LBB14_36:
	v_ashrrev_i32_e32 v13, 31, v10
	v_mov_b32_e32 v12, v10
	global_store_dwordx2 v[0:1], v[12:13], off offset:1024
	s_or_b64 exec, exec, s[0:1]
	s_and_saveexec_b64 s[0:1], s[20:21]
	s_cbranch_execz .LBB14_27
.LBB14_37:
	v_ashrrev_i32_e32 v13, 31, v11
	v_mov_b32_e32 v12, v11
	global_store_dwordx2 v[0:1], v[12:13], off offset:2048
	s_or_b64 exec, exec, s[0:1]
	s_and_saveexec_b64 s[0:1], s[10:11]
	s_cbranch_execz .LBB14_28
.LBB14_38:
	v_ashrrev_i32_e32 v11, 31, v8
	v_mov_b32_e32 v10, v8
	global_store_dwordx2 v[0:1], v[10:11], off offset:3072
	s_or_b64 exec, exec, s[0:1]
	s_and_saveexec_b64 s[0:1], s[18:19]
	s_cbranch_execz .LBB14_29
.LBB14_39:
	v_add_co_u32_e32 v8, vcc, 0x1000, v0
	v_ashrrev_i32_e32 v11, 31, v9
	v_mov_b32_e32 v10, v9
	v_addc_co_u32_e32 v9, vcc, 0, v1, vcc
	global_store_dwordx2 v[8:9], v[10:11], off
	s_or_b64 exec, exec, s[0:1]
	s_and_saveexec_b64 s[0:1], s[16:17]
	s_cbranch_execz .LBB14_30
.LBB14_40:
	v_add_co_u32_e32 v10, vcc, 0x1000, v0
	v_ashrrev_i32_e32 v9, 31, v6
	v_mov_b32_e32 v8, v6
	v_addc_co_u32_e32 v11, vcc, 0, v1, vcc
	global_store_dwordx2 v[10:11], v[8:9], off offset:1024
	s_or_b64 exec, exec, s[0:1]
	s_and_saveexec_b64 s[0:1], s[12:13]
	s_cbranch_execz .LBB14_31
.LBB14_41:
	v_add_co_u32_e32 v6, vcc, 0x1000, v0
	v_ashrrev_i32_e32 v9, 31, v7
	v_mov_b32_e32 v8, v7
	v_addc_co_u32_e32 v7, vcc, 0, v1, vcc
	global_store_dwordx2 v[6:7], v[8:9], off offset:2048
	s_or_b64 exec, exec, s[0:1]
	s_and_saveexec_b64 s[0:1], s[8:9]
	s_cbranch_execz .LBB14_32
.LBB14_42:
	v_add_co_u32_e32 v8, vcc, 0x1000, v0
	v_ashrrev_i32_e32 v7, 31, v4
	v_mov_b32_e32 v6, v4
	v_addc_co_u32_e32 v9, vcc, 0, v1, vcc
	global_store_dwordx2 v[8:9], v[6:7], off offset:3072
	s_or_b64 exec, exec, s[0:1]
	s_and_saveexec_b64 s[0:1], s[6:7]
	s_cbranch_execz .LBB14_33
.LBB14_43:
	v_add_co_u32_e32 v4, vcc, 0x2000, v0
	v_ashrrev_i32_e32 v7, 31, v5
	v_mov_b32_e32 v6, v5
	v_addc_co_u32_e32 v5, vcc, 0, v1, vcc
	global_store_dwordx2 v[4:5], v[6:7], off
	s_or_b64 exec, exec, s[0:1]
	s_and_saveexec_b64 s[0:1], s[14:15]
	s_cbranch_execz .LBB14_34
.LBB14_44:
	v_add_co_u32_e32 v0, vcc, 0x2000, v0
	v_ashrrev_i32_e32 v3, 31, v2
	v_addc_co_u32_e32 v1, vcc, 0, v1, vcc
	global_store_dwordx2 v[0:1], v[2:3], off offset:1024
	s_endpgm
	.section	.rodata,"a",@progbits
	.p2align	6, 0x0
	.amdhsa_kernel _ZN7rocprim17ROCPRIM_304000_NS6detail18single_scan_kernelILb0ENS1_19wrapped_scan_configINS0_14default_configEiEEPKiPlSt4plusIvEiiEEvT1_mT4_T2_T3_
		.amdhsa_group_segment_fixed_size 5120
		.amdhsa_private_segment_fixed_size 0
		.amdhsa_kernarg_size 36
		.amdhsa_user_sgpr_count 6
		.amdhsa_user_sgpr_private_segment_buffer 1
		.amdhsa_user_sgpr_dispatch_ptr 0
		.amdhsa_user_sgpr_queue_ptr 0
		.amdhsa_user_sgpr_kernarg_segment_ptr 1
		.amdhsa_user_sgpr_dispatch_id 0
		.amdhsa_user_sgpr_flat_scratch_init 0
		.amdhsa_user_sgpr_kernarg_preload_length 0
		.amdhsa_user_sgpr_kernarg_preload_offset 0
		.amdhsa_user_sgpr_private_segment_size 0
		.amdhsa_uses_dynamic_stack 0
		.amdhsa_system_sgpr_private_segment_wavefront_offset 0
		.amdhsa_system_sgpr_workgroup_id_x 1
		.amdhsa_system_sgpr_workgroup_id_y 0
		.amdhsa_system_sgpr_workgroup_id_z 0
		.amdhsa_system_sgpr_workgroup_info 0
		.amdhsa_system_vgpr_workitem_id 0
		.amdhsa_next_free_vgpr 20
		.amdhsa_next_free_sgpr 24
		.amdhsa_accum_offset 20
		.amdhsa_reserve_vcc 1
		.amdhsa_reserve_flat_scratch 0
		.amdhsa_float_round_mode_32 0
		.amdhsa_float_round_mode_16_64 0
		.amdhsa_float_denorm_mode_32 3
		.amdhsa_float_denorm_mode_16_64 3
		.amdhsa_dx10_clamp 1
		.amdhsa_ieee_mode 1
		.amdhsa_fp16_overflow 0
		.amdhsa_tg_split 0
		.amdhsa_exception_fp_ieee_invalid_op 0
		.amdhsa_exception_fp_denorm_src 0
		.amdhsa_exception_fp_ieee_div_zero 0
		.amdhsa_exception_fp_ieee_overflow 0
		.amdhsa_exception_fp_ieee_underflow 0
		.amdhsa_exception_fp_ieee_inexact 0
		.amdhsa_exception_int_div_zero 0
	.end_amdhsa_kernel
	.section	.text._ZN7rocprim17ROCPRIM_304000_NS6detail18single_scan_kernelILb0ENS1_19wrapped_scan_configINS0_14default_configEiEEPKiPlSt4plusIvEiiEEvT1_mT4_T2_T3_,"axG",@progbits,_ZN7rocprim17ROCPRIM_304000_NS6detail18single_scan_kernelILb0ENS1_19wrapped_scan_configINS0_14default_configEiEEPKiPlSt4plusIvEiiEEvT1_mT4_T2_T3_,comdat
.Lfunc_end14:
	.size	_ZN7rocprim17ROCPRIM_304000_NS6detail18single_scan_kernelILb0ENS1_19wrapped_scan_configINS0_14default_configEiEEPKiPlSt4plusIvEiiEEvT1_mT4_T2_T3_, .Lfunc_end14-_ZN7rocprim17ROCPRIM_304000_NS6detail18single_scan_kernelILb0ENS1_19wrapped_scan_configINS0_14default_configEiEEPKiPlSt4plusIvEiiEEvT1_mT4_T2_T3_
                                        ; -- End function
	.section	.AMDGPU.csdata,"",@progbits
; Kernel info:
; codeLenInByte = 1644
; NumSgprs: 28
; NumVgprs: 20
; NumAgprs: 0
; TotalNumVgprs: 20
; ScratchSize: 0
; MemoryBound: 0
; FloatMode: 240
; IeeeMode: 1
; LDSByteSize: 5120 bytes/workgroup (compile time only)
; SGPRBlocks: 3
; VGPRBlocks: 2
; NumSGPRsForWavesPerEU: 28
; NumVGPRsForWavesPerEU: 20
; AccumOffset: 20
; Occupancy: 6
; WaveLimiterHint : 0
; COMPUTE_PGM_RSRC2:SCRATCH_EN: 0
; COMPUTE_PGM_RSRC2:USER_SGPR: 6
; COMPUTE_PGM_RSRC2:TRAP_HANDLER: 0
; COMPUTE_PGM_RSRC2:TGID_X_EN: 1
; COMPUTE_PGM_RSRC2:TGID_Y_EN: 0
; COMPUTE_PGM_RSRC2:TGID_Z_EN: 0
; COMPUTE_PGM_RSRC2:TIDIG_COMP_CNT: 0
; COMPUTE_PGM_RSRC3_GFX90A:ACCUM_OFFSET: 4
; COMPUTE_PGM_RSRC3_GFX90A:TG_SPLIT: 0
	.section	.text._ZN7rocprim17ROCPRIM_304000_NS6detail20lookback_scan_kernelILNS1_25lookback_scan_determinismE0ELb1ENS1_19wrapped_scan_configINS0_14default_configEiEEPKiPiN2at4cuda3cub12_GLOBAL__N_15SumOpIiEEiiNS1_19lookback_scan_stateIiLb1ELb1EEEEEvT2_T3_mT5_T4_T7_jPT6_SO_bb,"axG",@progbits,_ZN7rocprim17ROCPRIM_304000_NS6detail20lookback_scan_kernelILNS1_25lookback_scan_determinismE0ELb1ENS1_19wrapped_scan_configINS0_14default_configEiEEPKiPiN2at4cuda3cub12_GLOBAL__N_15SumOpIiEEiiNS1_19lookback_scan_stateIiLb1ELb1EEEEEvT2_T3_mT5_T4_T7_jPT6_SO_bb,comdat
	.globl	_ZN7rocprim17ROCPRIM_304000_NS6detail20lookback_scan_kernelILNS1_25lookback_scan_determinismE0ELb1ENS1_19wrapped_scan_configINS0_14default_configEiEEPKiPiN2at4cuda3cub12_GLOBAL__N_15SumOpIiEEiiNS1_19lookback_scan_stateIiLb1ELb1EEEEEvT2_T3_mT5_T4_T7_jPT6_SO_bb ; -- Begin function _ZN7rocprim17ROCPRIM_304000_NS6detail20lookback_scan_kernelILNS1_25lookback_scan_determinismE0ELb1ENS1_19wrapped_scan_configINS0_14default_configEiEEPKiPiN2at4cuda3cub12_GLOBAL__N_15SumOpIiEEiiNS1_19lookback_scan_stateIiLb1ELb1EEEEEvT2_T3_mT5_T4_T7_jPT6_SO_bb
	.p2align	8
	.type	_ZN7rocprim17ROCPRIM_304000_NS6detail20lookback_scan_kernelILNS1_25lookback_scan_determinismE0ELb1ENS1_19wrapped_scan_configINS0_14default_configEiEEPKiPiN2at4cuda3cub12_GLOBAL__N_15SumOpIiEEiiNS1_19lookback_scan_stateIiLb1ELb1EEEEEvT2_T3_mT5_T4_T7_jPT6_SO_bb,@function
_ZN7rocprim17ROCPRIM_304000_NS6detail20lookback_scan_kernelILNS1_25lookback_scan_determinismE0ELb1ENS1_19wrapped_scan_configINS0_14default_configEiEEPKiPiN2at4cuda3cub12_GLOBAL__N_15SumOpIiEEiiNS1_19lookback_scan_stateIiLb1ELb1EEEEEvT2_T3_mT5_T4_T7_jPT6_SO_bb: ; @_ZN7rocprim17ROCPRIM_304000_NS6detail20lookback_scan_kernelILNS1_25lookback_scan_determinismE0ELb1ENS1_19wrapped_scan_configINS0_14default_configEiEEPKiPiN2at4cuda3cub12_GLOBAL__N_15SumOpIiEEiiNS1_19lookback_scan_stateIiLb1ELb1EEEEEvT2_T3_mT5_T4_T7_jPT6_SO_bb
; %bb.0:
	s_endpgm
	.section	.rodata,"a",@progbits
	.p2align	6, 0x0
	.amdhsa_kernel _ZN7rocprim17ROCPRIM_304000_NS6detail20lookback_scan_kernelILNS1_25lookback_scan_determinismE0ELb1ENS1_19wrapped_scan_configINS0_14default_configEiEEPKiPiN2at4cuda3cub12_GLOBAL__N_15SumOpIiEEiiNS1_19lookback_scan_stateIiLb1ELb1EEEEEvT2_T3_mT5_T4_T7_jPT6_SO_bb
		.amdhsa_group_segment_fixed_size 0
		.amdhsa_private_segment_fixed_size 0
		.amdhsa_kernarg_size 68
		.amdhsa_user_sgpr_count 6
		.amdhsa_user_sgpr_private_segment_buffer 1
		.amdhsa_user_sgpr_dispatch_ptr 0
		.amdhsa_user_sgpr_queue_ptr 0
		.amdhsa_user_sgpr_kernarg_segment_ptr 1
		.amdhsa_user_sgpr_dispatch_id 0
		.amdhsa_user_sgpr_flat_scratch_init 0
		.amdhsa_user_sgpr_kernarg_preload_length 0
		.amdhsa_user_sgpr_kernarg_preload_offset 0
		.amdhsa_user_sgpr_private_segment_size 0
		.amdhsa_uses_dynamic_stack 0
		.amdhsa_system_sgpr_private_segment_wavefront_offset 0
		.amdhsa_system_sgpr_workgroup_id_x 1
		.amdhsa_system_sgpr_workgroup_id_y 0
		.amdhsa_system_sgpr_workgroup_id_z 0
		.amdhsa_system_sgpr_workgroup_info 0
		.amdhsa_system_vgpr_workitem_id 0
		.amdhsa_next_free_vgpr 1
		.amdhsa_next_free_sgpr 0
		.amdhsa_accum_offset 4
		.amdhsa_reserve_vcc 0
		.amdhsa_reserve_flat_scratch 0
		.amdhsa_float_round_mode_32 0
		.amdhsa_float_round_mode_16_64 0
		.amdhsa_float_denorm_mode_32 3
		.amdhsa_float_denorm_mode_16_64 3
		.amdhsa_dx10_clamp 1
		.amdhsa_ieee_mode 1
		.amdhsa_fp16_overflow 0
		.amdhsa_tg_split 0
		.amdhsa_exception_fp_ieee_invalid_op 0
		.amdhsa_exception_fp_denorm_src 0
		.amdhsa_exception_fp_ieee_div_zero 0
		.amdhsa_exception_fp_ieee_overflow 0
		.amdhsa_exception_fp_ieee_underflow 0
		.amdhsa_exception_fp_ieee_inexact 0
		.amdhsa_exception_int_div_zero 0
	.end_amdhsa_kernel
	.section	.text._ZN7rocprim17ROCPRIM_304000_NS6detail20lookback_scan_kernelILNS1_25lookback_scan_determinismE0ELb1ENS1_19wrapped_scan_configINS0_14default_configEiEEPKiPiN2at4cuda3cub12_GLOBAL__N_15SumOpIiEEiiNS1_19lookback_scan_stateIiLb1ELb1EEEEEvT2_T3_mT5_T4_T7_jPT6_SO_bb,"axG",@progbits,_ZN7rocprim17ROCPRIM_304000_NS6detail20lookback_scan_kernelILNS1_25lookback_scan_determinismE0ELb1ENS1_19wrapped_scan_configINS0_14default_configEiEEPKiPiN2at4cuda3cub12_GLOBAL__N_15SumOpIiEEiiNS1_19lookback_scan_stateIiLb1ELb1EEEEEvT2_T3_mT5_T4_T7_jPT6_SO_bb,comdat
.Lfunc_end15:
	.size	_ZN7rocprim17ROCPRIM_304000_NS6detail20lookback_scan_kernelILNS1_25lookback_scan_determinismE0ELb1ENS1_19wrapped_scan_configINS0_14default_configEiEEPKiPiN2at4cuda3cub12_GLOBAL__N_15SumOpIiEEiiNS1_19lookback_scan_stateIiLb1ELb1EEEEEvT2_T3_mT5_T4_T7_jPT6_SO_bb, .Lfunc_end15-_ZN7rocprim17ROCPRIM_304000_NS6detail20lookback_scan_kernelILNS1_25lookback_scan_determinismE0ELb1ENS1_19wrapped_scan_configINS0_14default_configEiEEPKiPiN2at4cuda3cub12_GLOBAL__N_15SumOpIiEEiiNS1_19lookback_scan_stateIiLb1ELb1EEEEEvT2_T3_mT5_T4_T7_jPT6_SO_bb
                                        ; -- End function
	.section	.AMDGPU.csdata,"",@progbits
; Kernel info:
; codeLenInByte = 4
; NumSgprs: 4
; NumVgprs: 0
; NumAgprs: 0
; TotalNumVgprs: 0
; ScratchSize: 0
; MemoryBound: 0
; FloatMode: 240
; IeeeMode: 1
; LDSByteSize: 0 bytes/workgroup (compile time only)
; SGPRBlocks: 0
; VGPRBlocks: 0
; NumSGPRsForWavesPerEU: 4
; NumVGPRsForWavesPerEU: 1
; AccumOffset: 4
; Occupancy: 8
; WaveLimiterHint : 0
; COMPUTE_PGM_RSRC2:SCRATCH_EN: 0
; COMPUTE_PGM_RSRC2:USER_SGPR: 6
; COMPUTE_PGM_RSRC2:TRAP_HANDLER: 0
; COMPUTE_PGM_RSRC2:TGID_X_EN: 1
; COMPUTE_PGM_RSRC2:TGID_Y_EN: 0
; COMPUTE_PGM_RSRC2:TGID_Z_EN: 0
; COMPUTE_PGM_RSRC2:TIDIG_COMP_CNT: 0
; COMPUTE_PGM_RSRC3_GFX90A:ACCUM_OFFSET: 0
; COMPUTE_PGM_RSRC3_GFX90A:TG_SPLIT: 0
	.section	.text._ZN7rocprim17ROCPRIM_304000_NS6detail20lookback_scan_kernelILNS1_25lookback_scan_determinismE0ELb1ENS1_19wrapped_scan_configINS0_14default_configEiEEPKiPiN2at4cuda3cub12_GLOBAL__N_15SumOpIiEEiiNS1_19lookback_scan_stateIiLb0ELb1EEEEEvT2_T3_mT5_T4_T7_jPT6_SO_bb,"axG",@progbits,_ZN7rocprim17ROCPRIM_304000_NS6detail20lookback_scan_kernelILNS1_25lookback_scan_determinismE0ELb1ENS1_19wrapped_scan_configINS0_14default_configEiEEPKiPiN2at4cuda3cub12_GLOBAL__N_15SumOpIiEEiiNS1_19lookback_scan_stateIiLb0ELb1EEEEEvT2_T3_mT5_T4_T7_jPT6_SO_bb,comdat
	.globl	_ZN7rocprim17ROCPRIM_304000_NS6detail20lookback_scan_kernelILNS1_25lookback_scan_determinismE0ELb1ENS1_19wrapped_scan_configINS0_14default_configEiEEPKiPiN2at4cuda3cub12_GLOBAL__N_15SumOpIiEEiiNS1_19lookback_scan_stateIiLb0ELb1EEEEEvT2_T3_mT5_T4_T7_jPT6_SO_bb ; -- Begin function _ZN7rocprim17ROCPRIM_304000_NS6detail20lookback_scan_kernelILNS1_25lookback_scan_determinismE0ELb1ENS1_19wrapped_scan_configINS0_14default_configEiEEPKiPiN2at4cuda3cub12_GLOBAL__N_15SumOpIiEEiiNS1_19lookback_scan_stateIiLb0ELb1EEEEEvT2_T3_mT5_T4_T7_jPT6_SO_bb
	.p2align	8
	.type	_ZN7rocprim17ROCPRIM_304000_NS6detail20lookback_scan_kernelILNS1_25lookback_scan_determinismE0ELb1ENS1_19wrapped_scan_configINS0_14default_configEiEEPKiPiN2at4cuda3cub12_GLOBAL__N_15SumOpIiEEiiNS1_19lookback_scan_stateIiLb0ELb1EEEEEvT2_T3_mT5_T4_T7_jPT6_SO_bb,@function
_ZN7rocprim17ROCPRIM_304000_NS6detail20lookback_scan_kernelILNS1_25lookback_scan_determinismE0ELb1ENS1_19wrapped_scan_configINS0_14default_configEiEEPKiPiN2at4cuda3cub12_GLOBAL__N_15SumOpIiEEiiNS1_19lookback_scan_stateIiLb0ELb1EEEEEvT2_T3_mT5_T4_T7_jPT6_SO_bb: ; @_ZN7rocprim17ROCPRIM_304000_NS6detail20lookback_scan_kernelILNS1_25lookback_scan_determinismE0ELb1ENS1_19wrapped_scan_configINS0_14default_configEiEEPKiPiN2at4cuda3cub12_GLOBAL__N_15SumOpIiEEiiNS1_19lookback_scan_stateIiLb0ELb1EEEEEvT2_T3_mT5_T4_T7_jPT6_SO_bb
; %bb.0:
	s_load_dword s3, s[4:5], 0x28
	s_load_dwordx4 s[20:23], s[4:5], 0x0
	s_load_dwordx2 s[0:1], s[4:5], 0x10
	s_mul_i32 s2, s6, 0x500
	v_lshlrev_b32_e32 v22, 2, v0
	s_waitcnt lgkmcnt(0)
	s_add_i32 s7, s3, -1
	s_mul_i32 s8, s7, 0x500
	s_sub_u32 s26, s0, s8
	s_subb_u32 s27, s1, 0
	s_mov_b32 s3, 0
	s_cmp_lg_u32 s6, s7
	s_cselect_b64 s[18:19], -1, 0
	s_lshl_b64 s[24:25], s[2:3], 2
	s_add_u32 s2, s20, s24
	s_addc_u32 s3, s21, s25
	s_mov_b64 s[0:1], -1
	s_and_b64 vcc, exec, s[18:19]
	s_cbranch_vccz .LBB16_2
; %bb.1:
	v_mov_b32_e32 v1, s3
	v_add_co_u32_e32 v2, vcc, s2, v22
	v_addc_co_u32_e32 v1, vcc, 0, v1, vcc
	v_add_co_u32_e32 v2, vcc, 0x1000, v2
	v_addc_co_u32_e32 v3, vcc, 0, v1, vcc
	global_load_dword v4, v22, s[2:3]
	global_load_dword v5, v22, s[2:3] offset:512
	global_load_dword v6, v22, s[2:3] offset:1024
	;; [unrolled: 1-line block ×7, first 2 shown]
	global_load_dword v1, v[2:3], off
	global_load_dword v12, v[2:3], off offset:512
	s_mov_b64 s[0:1], 0
	s_waitcnt vmcnt(8)
	ds_write2st64_b32 v22, v4, v5 offset1:2
	s_waitcnt vmcnt(6)
	ds_write2st64_b32 v22, v6, v7 offset0:4 offset1:6
	s_waitcnt vmcnt(4)
	ds_write2st64_b32 v22, v8, v9 offset0:8 offset1:10
	;; [unrolled: 2-line block ×4, first 2 shown]
	s_waitcnt lgkmcnt(0)
	s_barrier
.LBB16_2:
	s_andn2_b64 vcc, exec, s[0:1]
	v_cmp_gt_u32_e64 s[0:1], s26, v0
	s_cbranch_vccnz .LBB16_24
; %bb.3:
	s_load_dword s8, s[2:3], 0x0
	v_mov_b32_e32 v1, s3
	v_add_co_u32_e32 v12, vcc, s2, v22
	v_addc_co_u32_e32 v13, vcc, 0, v1, vcc
	s_waitcnt lgkmcnt(0)
	s_mov_b32 s9, s8
	s_mov_b32 s10, s8
	;; [unrolled: 1-line block ×9, first 2 shown]
	v_pk_mov_b32 v[2:3], s[8:9], s[8:9] op_sel:[0,1]
	v_pk_mov_b32 v[4:5], s[10:11], s[10:11] op_sel:[0,1]
	;; [unrolled: 1-line block ×5, first 2 shown]
	v_mov_b32_e32 v1, s8
	s_and_saveexec_b64 s[2:3], s[0:1]
	s_cbranch_execz .LBB16_5
; %bb.4:
	global_load_dword v1, v[12:13], off
	v_pk_mov_b32 v[2:3], s[8:9], s[8:9] op_sel:[0,1]
	v_pk_mov_b32 v[4:5], s[10:11], s[10:11] op_sel:[0,1]
	;; [unrolled: 1-line block ×5, first 2 shown]
                                        ; kill: def $vgpr2 killed $vgpr1 killed $exec
.LBB16_5:
	s_or_b64 exec, exec, s[2:3]
	v_or_b32_e32 v2, 0x80, v0
	v_cmp_gt_u32_e32 vcc, s26, v2
	s_and_saveexec_b64 s[0:1], vcc
	s_cbranch_execz .LBB16_7
; %bb.6:
	global_load_dword v3, v[12:13], off offset:512
.LBB16_7:
	s_or_b64 exec, exec, s[0:1]
	v_or_b32_e32 v2, 0x100, v0
	v_cmp_gt_u32_e32 vcc, s26, v2
	s_and_saveexec_b64 s[0:1], vcc
	s_cbranch_execz .LBB16_9
; %bb.8:
	global_load_dword v4, v[12:13], off offset:1024
.LBB16_9:
	;; [unrolled: 8-line block ×7, first 2 shown]
	s_or_b64 exec, exec, s[0:1]
	v_or_b32_e32 v2, 0x400, v0
	v_cmp_gt_u32_e32 vcc, s26, v2
	s_and_saveexec_b64 s[0:1], vcc
	s_cbranch_execz .LBB16_21
; %bb.20:
	v_add_co_u32_e32 v14, vcc, 0x1000, v12
	v_addc_co_u32_e32 v15, vcc, 0, v13, vcc
	global_load_dword v10, v[14:15], off
.LBB16_21:
	s_or_b64 exec, exec, s[0:1]
	v_or_b32_e32 v2, 0x480, v0
	v_cmp_gt_u32_e32 vcc, s26, v2
	s_and_saveexec_b64 s[0:1], vcc
	s_cbranch_execz .LBB16_23
; %bb.22:
	v_add_co_u32_e32 v12, vcc, 0x1000, v12
	v_addc_co_u32_e32 v13, vcc, 0, v13, vcc
	global_load_dword v11, v[12:13], off offset:512
.LBB16_23:
	s_or_b64 exec, exec, s[0:1]
	s_waitcnt vmcnt(0)
	ds_write2st64_b32 v22, v1, v3 offset1:2
	ds_write2st64_b32 v22, v4, v5 offset0:4 offset1:6
	ds_write2st64_b32 v22, v6, v7 offset0:8 offset1:10
	;; [unrolled: 1-line block ×4, first 2 shown]
	s_waitcnt lgkmcnt(0)
	s_barrier
.LBB16_24:
	v_mul_u32_u24_e32 v23, 10, v0
	v_lshlrev_b32_e32 v1, 2, v23
	s_load_dwordx2 s[8:9], s[4:5], 0x20
	s_waitcnt lgkmcnt(0)
	ds_read2_b64 v[16:19], v1 offset1:1
	ds_read2_b64 v[12:15], v1 offset0:2 offset1:3
	ds_read_b64 v[20:21], v1 offset:32
	s_cmp_lg_u32 s6, 0
	v_lshrrev_b32_e32 v24, 5, v0
	s_waitcnt lgkmcnt(2)
	v_add_u32_e32 v2, v17, v16
	v_add3_u32 v25, v2, v18, v19
	v_cmp_gt_u32_e32 vcc, 64, v0
	s_waitcnt lgkmcnt(0)
	s_barrier
	s_cbranch_scc0 .LBB16_49
; %bb.25:
	v_add3_u32 v2, v25, v12, v13
	v_add3_u32 v2, v2, v14, v15
	;; [unrolled: 1-line block ×3, first 2 shown]
	v_add_lshl_u32 v3, v24, v0, 2
	ds_write_b32 v3, v2
	s_waitcnt lgkmcnt(0)
	s_barrier
	s_and_saveexec_b64 s[2:3], vcc
	s_cbranch_execz .LBB16_27
; %bb.26:
	v_lshlrev_b32_e32 v3, 1, v0
	v_lshrrev_b32_e32 v4, 4, v0
	v_add_lshl_u32 v3, v4, v3, 2
	ds_read2_b32 v[4:5], v3 offset1:1
	v_mbcnt_lo_u32_b32 v6, -1, 0
	v_mbcnt_hi_u32_b32 v6, -1, v6
	v_and_b32_e32 v7, 15, v6
	v_cmp_ne_u32_e64 s[0:1], 0, v7
	s_waitcnt lgkmcnt(0)
	v_add_u32_e32 v8, v5, v4
	s_nop 1
	v_mov_b32_dpp v9, v8 row_shr:1 row_mask:0xf bank_mask:0xf
	v_cndmask_b32_e64 v9, 0, v9, s[0:1]
	v_add_u32_e32 v8, v9, v8
	v_cmp_lt_u32_e64 s[0:1], 1, v7
	s_nop 0
	v_mov_b32_dpp v9, v8 row_shr:2 row_mask:0xf bank_mask:0xf
	v_cndmask_b32_e64 v9, 0, v9, s[0:1]
	v_add_u32_e32 v8, v8, v9
	v_cmp_lt_u32_e64 s[0:1], 3, v7
	;; [unrolled: 5-line block ×3, first 2 shown]
	s_nop 0
	v_mov_b32_dpp v9, v8 row_shr:8 row_mask:0xf bank_mask:0xf
	v_cndmask_b32_e64 v7, 0, v9, s[0:1]
	v_add_u32_e32 v7, v8, v7
	v_bfe_i32 v9, v6, 4, 1
	v_cmp_lt_u32_e64 s[0:1], 31, v6
	v_mov_b32_dpp v8, v7 row_bcast:15 row_mask:0xf bank_mask:0xf
	v_and_b32_e32 v8, v9, v8
	v_add_u32_e32 v7, v7, v8
	v_and_b32_e32 v9, 64, v6
	s_nop 0
	v_mov_b32_dpp v8, v7 row_bcast:31 row_mask:0xf bank_mask:0xf
	v_cndmask_b32_e64 v8, 0, v8, s[0:1]
	v_add_u32_e32 v7, v7, v8
	v_add_u32_e32 v8, -1, v6
	v_cmp_lt_i32_e64 s[0:1], v8, v9
	v_cndmask_b32_e64 v6, v8, v6, s[0:1]
	v_lshlrev_b32_e32 v6, 2, v6
	ds_bpermute_b32 v6, v6, v7
	v_cmp_eq_u32_e64 s[0:1], 0, v0
	s_waitcnt lgkmcnt(0)
	v_add_u32_e32 v4, v6, v4
	v_cndmask_b32_e64 v2, v4, v2, s[0:1]
	v_add_u32_e32 v4, v2, v5
	ds_write2_b32 v3, v2, v4 offset1:1
.LBB16_27:
	s_or_b64 exec, exec, s[2:3]
	v_cmp_eq_u32_e64 s[0:1], 0, v0
	v_cmp_ne_u32_e64 s[2:3], 0, v0
	v_mov_b32_e32 v26, 0
	s_waitcnt lgkmcnt(0)
	s_barrier
	s_and_saveexec_b64 s[10:11], s[2:3]
	s_cbranch_execz .LBB16_29
; %bb.28:
	v_add_u32_e32 v2, -1, v0
	v_lshrrev_b32_e32 v3, 5, v2
	v_add_lshl_u32 v2, v3, v2, 2
	ds_read_b32 v26, v2
.LBB16_29:
	s_or_b64 exec, exec, s[10:11]
	s_and_saveexec_b64 s[10:11], vcc
	s_cbranch_execz .LBB16_48
; %bb.30:
	v_mov_b32_e32 v9, 0
	ds_read_b32 v2, v9 offset:520
	v_mbcnt_lo_u32_b32 v3, -1, 0
	v_mbcnt_hi_u32_b32 v5, -1, v3
	s_mov_b32 s15, 0
	v_cmp_eq_u32_e64 s[2:3], 0, v5
	s_and_saveexec_b64 s[12:13], s[2:3]
	s_cbranch_execz .LBB16_32
; %bb.31:
	s_add_i32 s14, s6, 64
	s_lshl_b64 s[14:15], s[14:15], 3
	s_add_u32 s14, s8, s14
	s_addc_u32 s15, s9, s15
	v_mov_b32_e32 v3, 1
	s_waitcnt lgkmcnt(0)
	global_store_dwordx2 v9, v[2:3], s[14:15]
.LBB16_32:
	s_or_b64 exec, exec, s[12:13]
	v_xad_u32 v4, v5, -1, s6
	v_add_u32_e32 v8, 64, v4
	v_lshlrev_b64 v[6:7], 3, v[8:9]
	v_mov_b32_e32 v3, s9
	v_add_co_u32_e32 v10, vcc, s8, v6
	v_addc_co_u32_e32 v11, vcc, v3, v7, vcc
	global_load_dwordx2 v[6:7], v[10:11], off glc
	s_waitcnt vmcnt(0)
	v_cmp_eq_u16_sdwa s[14:15], v7, v9 src0_sel:BYTE_0 src1_sel:DWORD
	s_and_saveexec_b64 s[12:13], s[14:15]
	s_cbranch_execz .LBB16_36
; %bb.33:
	s_mov_b64 s[14:15], 0
	v_mov_b32_e32 v3, 0
.LBB16_34:                              ; =>This Inner Loop Header: Depth=1
	global_load_dwordx2 v[6:7], v[10:11], off glc
	s_waitcnt vmcnt(0)
	v_cmp_ne_u16_sdwa s[16:17], v7, v3 src0_sel:BYTE_0 src1_sel:DWORD
	s_or_b64 s[14:15], s[16:17], s[14:15]
	s_andn2_b64 exec, exec, s[14:15]
	s_cbranch_execnz .LBB16_34
; %bb.35:
	s_or_b64 exec, exec, s[14:15]
.LBB16_36:
	s_or_b64 exec, exec, s[12:13]
	v_and_b32_e32 v35, 63, v5
	v_mov_b32_e32 v3, 2
	v_cmp_ne_u32_e32 vcc, 63, v35
	v_cmp_eq_u16_sdwa s[12:13], v7, v3 src0_sel:BYTE_0 src1_sel:DWORD
	v_lshlrev_b64 v[8:9], v5, -1
	v_addc_co_u32_e32 v27, vcc, 0, v5, vcc
	v_and_b32_e32 v10, s13, v9
	v_lshlrev_b32_e32 v27, 2, v27
	v_or_b32_e32 v10, 0x80000000, v10
	ds_bpermute_b32 v29, v27, v6
	v_and_b32_e32 v11, s12, v8
	v_ffbl_b32_e32 v10, v10
	v_add_u32_e32 v10, 32, v10
	v_ffbl_b32_e32 v11, v11
	v_min_u32_e32 v10, v11, v10
	v_add_u32_e32 v28, 1, v5
	v_cmp_le_u32_e32 vcc, v28, v10
	s_waitcnt lgkmcnt(0)
	v_cndmask_b32_e32 v11, 0, v29, vcc
	v_cmp_gt_u32_e32 vcc, 62, v35
	v_add_u32_e32 v6, v11, v6
	v_cndmask_b32_e64 v11, 0, 1, vcc
	v_lshlrev_b32_e32 v11, 1, v11
	v_add_lshl_u32 v29, v11, v5, 2
	ds_bpermute_b32 v11, v29, v6
	v_add_u32_e32 v30, 2, v5
	v_cmp_le_u32_e32 vcc, v30, v10
	v_add_u32_e32 v32, 4, v5
	v_add_u32_e32 v34, 8, v5
	s_waitcnt lgkmcnt(0)
	v_cndmask_b32_e32 v11, 0, v11, vcc
	v_cmp_gt_u32_e32 vcc, 60, v35
	v_add_u32_e32 v6, v6, v11
	v_cndmask_b32_e64 v11, 0, 1, vcc
	v_lshlrev_b32_e32 v11, 2, v11
	v_add_lshl_u32 v31, v11, v5, 2
	ds_bpermute_b32 v11, v31, v6
	v_cmp_le_u32_e32 vcc, v32, v10
	v_add_u32_e32 v37, 16, v5
	v_add_u32_e32 v39, 32, v5
	s_waitcnt lgkmcnt(0)
	v_cndmask_b32_e32 v11, 0, v11, vcc
	v_cmp_gt_u32_e32 vcc, 56, v35
	v_add_u32_e32 v6, v6, v11
	v_cndmask_b32_e64 v11, 0, 1, vcc
	v_lshlrev_b32_e32 v11, 3, v11
	v_add_lshl_u32 v33, v11, v5, 2
	ds_bpermute_b32 v11, v33, v6
	v_cmp_le_u32_e32 vcc, v34, v10
	s_waitcnt lgkmcnt(0)
	v_cndmask_b32_e32 v11, 0, v11, vcc
	v_cmp_gt_u32_e32 vcc, 48, v35
	v_add_u32_e32 v6, v6, v11
	v_cndmask_b32_e64 v11, 0, 1, vcc
	v_lshlrev_b32_e32 v11, 4, v11
	v_add_lshl_u32 v36, v11, v5, 2
	ds_bpermute_b32 v11, v36, v6
	v_cmp_le_u32_e32 vcc, v37, v10
	;; [unrolled: 9-line block ×3, first 2 shown]
	s_waitcnt lgkmcnt(0)
	v_cndmask_b32_e32 v5, 0, v11, vcc
	v_add_u32_e32 v6, v6, v5
	v_mov_b32_e32 v5, 0
	s_branch .LBB16_38
.LBB16_37:                              ;   in Loop: Header=BB16_38 Depth=1
	s_or_b64 exec, exec, s[12:13]
	v_cmp_eq_u16_sdwa s[12:13], v7, v3 src0_sel:BYTE_0 src1_sel:DWORD
	v_and_b32_e32 v10, s13, v9
	v_or_b32_e32 v10, 0x80000000, v10
	ds_bpermute_b32 v40, v27, v6
	v_and_b32_e32 v11, s12, v8
	v_ffbl_b32_e32 v10, v10
	v_add_u32_e32 v10, 32, v10
	v_ffbl_b32_e32 v11, v11
	v_min_u32_e32 v10, v11, v10
	v_cmp_le_u32_e32 vcc, v28, v10
	s_waitcnt lgkmcnt(0)
	v_cndmask_b32_e32 v11, 0, v40, vcc
	v_add_u32_e32 v6, v11, v6
	ds_bpermute_b32 v11, v29, v6
	v_cmp_le_u32_e32 vcc, v30, v10
	v_subrev_u32_e32 v4, 64, v4
	s_waitcnt lgkmcnt(0)
	v_cndmask_b32_e32 v11, 0, v11, vcc
	v_add_u32_e32 v6, v6, v11
	ds_bpermute_b32 v11, v31, v6
	v_cmp_le_u32_e32 vcc, v32, v10
	s_waitcnt lgkmcnt(0)
	v_cndmask_b32_e32 v11, 0, v11, vcc
	v_add_u32_e32 v6, v6, v11
	ds_bpermute_b32 v11, v33, v6
	v_cmp_le_u32_e32 vcc, v34, v10
	;; [unrolled: 5-line block ×4, first 2 shown]
	s_waitcnt lgkmcnt(0)
	v_cndmask_b32_e32 v10, 0, v11, vcc
	v_add3_u32 v6, v10, v35, v6
.LBB16_38:                              ; =>This Loop Header: Depth=1
                                        ;     Child Loop BB16_41 Depth 2
	v_cmp_ne_u16_sdwa s[12:13], v7, v3 src0_sel:BYTE_0 src1_sel:DWORD
	v_cndmask_b32_e64 v7, 0, 1, s[12:13]
	;;#ASMSTART
	;;#ASMEND
	v_cmp_ne_u32_e32 vcc, 0, v7
	s_cmp_lg_u64 vcc, exec
	v_mov_b32_e32 v35, v6
	s_cbranch_scc1 .LBB16_43
; %bb.39:                               ;   in Loop: Header=BB16_38 Depth=1
	v_lshlrev_b64 v[6:7], 3, v[4:5]
	v_mov_b32_e32 v11, s9
	v_add_co_u32_e32 v10, vcc, s8, v6
	v_addc_co_u32_e32 v11, vcc, v11, v7, vcc
	global_load_dwordx2 v[6:7], v[10:11], off glc
	s_waitcnt vmcnt(0)
	v_cmp_eq_u16_sdwa s[14:15], v7, v5 src0_sel:BYTE_0 src1_sel:DWORD
	s_and_saveexec_b64 s[12:13], s[14:15]
	s_cbranch_execz .LBB16_37
; %bb.40:                               ;   in Loop: Header=BB16_38 Depth=1
	s_mov_b64 s[14:15], 0
.LBB16_41:                              ;   Parent Loop BB16_38 Depth=1
                                        ; =>  This Inner Loop Header: Depth=2
	global_load_dwordx2 v[6:7], v[10:11], off glc
	s_waitcnt vmcnt(0)
	v_cmp_ne_u16_sdwa s[16:17], v7, v5 src0_sel:BYTE_0 src1_sel:DWORD
	s_or_b64 s[14:15], s[16:17], s[14:15]
	s_andn2_b64 exec, exec, s[14:15]
	s_cbranch_execnz .LBB16_41
; %bb.42:                               ;   in Loop: Header=BB16_38 Depth=1
	s_or_b64 exec, exec, s[14:15]
	s_branch .LBB16_37
.LBB16_43:                              ;   in Loop: Header=BB16_38 Depth=1
                                        ; implicit-def: $vgpr6
                                        ; implicit-def: $vgpr7
	s_cbranch_execz .LBB16_38
; %bb.44:
	s_and_saveexec_b64 s[12:13], s[2:3]
	s_cbranch_execz .LBB16_46
; %bb.45:
	s_add_i32 s2, s6, 64
	s_mov_b32 s3, 0
	s_lshl_b64 s[2:3], s[2:3], 3
	s_add_u32 s2, s8, s2
	s_addc_u32 s3, s9, s3
	v_mov_b32_e32 v4, 0
	v_add_u32_e32 v2, v35, v2
	v_mov_b32_e32 v3, 2
	global_store_dwordx2 v4, v[2:3], s[2:3]
.LBB16_46:
	s_or_b64 exec, exec, s[12:13]
	s_and_b64 exec, exec, s[0:1]
	s_cbranch_execz .LBB16_48
; %bb.47:
	v_mov_b32_e32 v2, 0
	ds_write_b32 v2, v35
.LBB16_48:
	s_or_b64 exec, exec, s[10:11]
	v_mov_b32_e32 v2, 0
	s_waitcnt lgkmcnt(0)
	s_barrier
	ds_read_b32 v2, v2
	s_waitcnt lgkmcnt(0)
	v_add_u32_e32 v2, v2, v26
	v_add_u32_e32 v3, v2, v16
	v_add_u32_e32 v4, v3, v17
	v_add_u32_e32 v5, v4, v18
	v_add_u32_e32 v6, v5, v19
	v_add_u32_e32 v7, v6, v12
	v_add_u32_e32 v8, v7, v13
	v_add_u32_e32 v9, v8, v14
	v_add_u32_e32 v10, v9, v15
	v_add_u32_e32 v11, v10, v20
	s_load_dwordx4 s[0:3], s[4:5], 0x30
	s_branch .LBB16_60
.LBB16_49:
                                        ; implicit-def: $vgpr2_vgpr3_vgpr4_vgpr5_vgpr6_vgpr7_vgpr8_vgpr9_vgpr10_vgpr11
	s_load_dwordx4 s[0:3], s[4:5], 0x30
	s_cbranch_execz .LBB16_60
; %bb.50:
	s_load_dword s6, s[4:5], 0x40
	s_waitcnt lgkmcnt(0)
	s_bitcmp0_b32 s6, 0
	s_cbranch_scc1 .LBB16_52
; %bb.51:
	s_add_u32 s6, s20, -4
	s_addc_u32 s7, s21, -1
	s_load_dword s10, s[0:1], 0x0
	s_load_dword s11, s[6:7], 0x0
	s_waitcnt lgkmcnt(0)
	s_add_i32 s10, s11, s10
	s_branch .LBB16_53
.LBB16_52:
	s_load_dword s10, s[4:5], 0x18
.LBB16_53:
	v_add3_u32 v2, v25, v12, v13
	v_add3_u32 v2, v2, v14, v15
	;; [unrolled: 1-line block ×3, first 2 shown]
	v_add_lshl_u32 v3, v24, v0, 2
	v_cmp_gt_u32_e32 vcc, 64, v0
	ds_write_b32 v3, v2
	s_waitcnt lgkmcnt(0)
	s_barrier
	s_and_saveexec_b64 s[0:1], vcc
	s_cbranch_execz .LBB16_55
; %bb.54:
	v_lshlrev_b32_e32 v3, 1, v0
	v_lshrrev_b32_e32 v4, 4, v0
	v_add_lshl_u32 v3, v4, v3, 2
	ds_read2_b32 v[4:5], v3 offset1:1
	v_mbcnt_lo_u32_b32 v6, -1, 0
	v_mbcnt_hi_u32_b32 v6, -1, v6
	v_and_b32_e32 v7, 15, v6
	v_cmp_ne_u32_e32 vcc, 0, v7
	s_waitcnt lgkmcnt(0)
	v_add_u32_e32 v8, v5, v4
	s_nop 1
	v_mov_b32_dpp v9, v8 row_shr:1 row_mask:0xf bank_mask:0xf
	v_cndmask_b32_e32 v9, 0, v9, vcc
	v_add_u32_e32 v8, v9, v8
	v_cmp_lt_u32_e32 vcc, 1, v7
	s_nop 0
	v_mov_b32_dpp v9, v8 row_shr:2 row_mask:0xf bank_mask:0xf
	v_cndmask_b32_e32 v9, 0, v9, vcc
	v_add_u32_e32 v8, v8, v9
	v_cmp_lt_u32_e32 vcc, 3, v7
	;; [unrolled: 5-line block ×3, first 2 shown]
	s_nop 0
	v_mov_b32_dpp v9, v8 row_shr:8 row_mask:0xf bank_mask:0xf
	v_cndmask_b32_e32 v7, 0, v9, vcc
	v_add_u32_e32 v7, v8, v7
	v_bfe_i32 v9, v6, 4, 1
	v_cmp_lt_u32_e32 vcc, 31, v6
	v_mov_b32_dpp v8, v7 row_bcast:15 row_mask:0xf bank_mask:0xf
	v_and_b32_e32 v8, v9, v8
	v_add_u32_e32 v7, v7, v8
	v_and_b32_e32 v9, 64, v6
	s_nop 0
	v_mov_b32_dpp v8, v7 row_bcast:31 row_mask:0xf bank_mask:0xf
	v_cndmask_b32_e32 v8, 0, v8, vcc
	v_add_u32_e32 v7, v7, v8
	v_add_u32_e32 v8, -1, v6
	v_cmp_lt_i32_e32 vcc, v8, v9
	v_cndmask_b32_e32 v6, v8, v6, vcc
	v_lshlrev_b32_e32 v6, 2, v6
	ds_bpermute_b32 v6, v6, v7
	v_cmp_eq_u32_e32 vcc, 0, v0
	s_waitcnt lgkmcnt(0)
	v_add_u32_e32 v4, v6, v4
	v_cndmask_b32_e32 v2, v4, v2, vcc
	v_add_u32_e32 v4, v2, v5
	ds_write2_b32 v3, v2, v4 offset1:1
.LBB16_55:
	s_or_b64 exec, exec, s[0:1]
	v_cmp_eq_u32_e32 vcc, 0, v0
	v_cmp_ne_u32_e64 s[0:1], 0, v0
	v_mov_b32_e32 v2, s10
	s_waitcnt lgkmcnt(0)
	s_barrier
	s_and_saveexec_b64 s[6:7], s[0:1]
	s_cbranch_execz .LBB16_57
; %bb.56:
	v_add_u32_e32 v2, -1, v0
	v_lshrrev_b32_e32 v3, 5, v2
	v_add_lshl_u32 v2, v3, v2, 2
	ds_read_b32 v2, v2
	s_waitcnt lgkmcnt(0)
	v_add_u32_e32 v2, s10, v2
.LBB16_57:
	s_or_b64 exec, exec, s[6:7]
	v_add_u32_e32 v3, v2, v16
	v_add_u32_e32 v4, v3, v17
	;; [unrolled: 1-line block ×9, first 2 shown]
	s_and_saveexec_b64 s[0:1], vcc
	s_cbranch_execz .LBB16_59
; %bb.58:
	v_mov_b32_e32 v14, 0
	ds_read_b32 v12, v14 offset:520
	v_mov_b32_e32 v13, 2
	s_waitcnt lgkmcnt(0)
	v_add_u32_e32 v12, s10, v12
	global_store_dwordx2 v14, v[12:13], s[8:9] offset:512
.LBB16_59:
	s_or_b64 exec, exec, s[0:1]
.LBB16_60:
	s_waitcnt lgkmcnt(0)
	s_add_u32 s0, s22, s24
	s_addc_u32 s1, s23, s25
	s_mov_b64 s[6:7], -1
	s_and_b64 vcc, exec, s[18:19]
	s_barrier
	s_cbranch_vccz .LBB16_62
; %bb.61:
	ds_write2_b64 v1, v[2:3], v[4:5] offset1:1
	ds_write2_b64 v1, v[6:7], v[8:9] offset0:2 offset1:3
	ds_write_b64 v1, v[10:11] offset:32
	s_waitcnt lgkmcnt(0)
	s_barrier
	ds_read2st64_b32 v[12:13], v22 offset1:2
	ds_read2st64_b32 v[14:15], v22 offset0:4 offset1:6
	ds_read2st64_b32 v[16:17], v22 offset0:8 offset1:10
	;; [unrolled: 1-line block ×4, first 2 shown]
	v_mov_b32_e32 v24, s1
	v_add_co_u32_e32 v25, vcc, s0, v22
	v_addc_co_u32_e32 v24, vcc, 0, v24, vcc
	s_waitcnt lgkmcnt(4)
	global_store_dword v22, v12, s[0:1]
	global_store_dword v22, v13, s[0:1] offset:512
	s_waitcnt lgkmcnt(3)
	global_store_dword v22, v14, s[0:1] offset:1024
	global_store_dword v22, v15, s[0:1] offset:1536
	s_waitcnt lgkmcnt(2)
	global_store_dword v22, v16, s[0:1] offset:2048
	;; [unrolled: 3-line block ×3, first 2 shown]
	global_store_dword v22, v19, s[0:1] offset:3584
	v_add_co_u32_e32 v12, vcc, 0x1000, v25
	v_addc_co_u32_e32 v13, vcc, 0, v24, vcc
	s_waitcnt lgkmcnt(0)
	global_store_dword v[12:13], v20, off
	global_store_dword v[12:13], v21, off offset:512
	s_mov_b64 s[6:7], 0
.LBB16_62:
	s_andn2_b64 vcc, exec, s[6:7]
	s_cbranch_vccnz .LBB16_118
; %bb.63:
	ds_write2_b64 v1, v[2:3], v[4:5] offset1:1
	ds_write2_b64 v1, v[6:7], v[8:9] offset0:2 offset1:3
	ds_write_b64 v1, v[10:11] offset:32
	s_waitcnt lgkmcnt(0)
	s_barrier
	ds_read2st64_b32 v[2:3], v22 offset1:2
	ds_read2st64_b32 v[6:7], v22 offset0:4 offset1:6
	ds_read2st64_b32 v[4:5], v22 offset0:8 offset1:10
	;; [unrolled: 1-line block ×4, first 2 shown]
	v_mov_b32_e32 v13, s1
	v_add_co_u32_e32 v12, vcc, s0, v22
	v_addc_co_u32_e32 v13, vcc, 0, v13, vcc
	v_mov_b32_e32 v1, 0
	v_cmp_gt_u32_e32 vcc, s26, v0
	s_and_saveexec_b64 s[0:1], vcc
	s_cbranch_execz .LBB16_65
; %bb.64:
	s_waitcnt lgkmcnt(4)
	global_store_dword v[12:13], v2, off
.LBB16_65:
	s_or_b64 exec, exec, s[0:1]
	v_or_b32_e32 v14, 0x80, v0
	v_cmp_gt_u32_e32 vcc, s26, v14
	s_and_saveexec_b64 s[0:1], vcc
	s_cbranch_execz .LBB16_67
; %bb.66:
	s_waitcnt lgkmcnt(4)
	global_store_dword v[12:13], v3, off offset:512
.LBB16_67:
	s_or_b64 exec, exec, s[0:1]
	v_or_b32_e32 v14, 0x100, v0
	v_cmp_gt_u32_e32 vcc, s26, v14
	s_and_saveexec_b64 s[0:1], vcc
	s_cbranch_execz .LBB16_69
; %bb.68:
	s_waitcnt lgkmcnt(3)
	global_store_dword v[12:13], v6, off offset:1024
.LBB16_69:
	;; [unrolled: 9-line block ×7, first 2 shown]
	s_or_b64 exec, exec, s[0:1]
	v_or_b32_e32 v14, 0x400, v0
	v_cmp_gt_u32_e32 vcc, s26, v14
	s_and_saveexec_b64 s[0:1], vcc
	s_cbranch_execz .LBB16_81
; %bb.80:
	v_add_co_u32_e32 v14, vcc, 0x1000, v12
	v_addc_co_u32_e32 v15, vcc, 0, v13, vcc
	s_waitcnt lgkmcnt(0)
	global_store_dword v[14:15], v10, off
.LBB16_81:
	s_or_b64 exec, exec, s[0:1]
	v_or_b32_e32 v14, 0x480, v0
	v_cmp_gt_u32_e32 vcc, s26, v14
	s_and_saveexec_b64 s[0:1], vcc
	s_cbranch_execz .LBB16_83
; %bb.82:
	v_add_co_u32_e32 v12, vcc, 0x1000, v12
	v_addc_co_u32_e32 v13, vcc, 0, v13, vcc
	s_waitcnt lgkmcnt(0)
	global_store_dword v[12:13], v11, off offset:512
.LBB16_83:
	s_or_b64 exec, exec, s[0:1]
	s_load_dword s0, s[4:5], 0x40
	s_waitcnt lgkmcnt(0)
	s_bfe_u32 s0, s0, 0x10008
	s_cmp_eq_u32 s0, 0
	s_cbranch_scc1 .LBB16_118
; %bb.84:
	s_add_u32 s0, s26, -1
	s_addc_u32 s1, s27, -1
	s_add_u32 s4, 0, 0x99986000
	s_addc_u32 s5, 0, 0x59
	s_add_i32 s5, s5, 0x19999940
	s_mul_hi_u32 s9, s4, -10
	s_sub_i32 s9, s9, s4
	s_mul_i32 s10, s5, -10
	s_mul_i32 s6, s4, -10
	s_add_i32 s9, s9, s10
	s_mul_hi_u32 s7, s5, s6
	s_mul_i32 s8, s5, s6
	s_mul_i32 s11, s4, s9
	s_mul_hi_u32 s6, s4, s6
	s_mul_hi_u32 s10, s4, s9
	s_add_u32 s6, s6, s11
	s_addc_u32 s10, 0, s10
	s_add_u32 s6, s6, s8
	s_mul_hi_u32 s11, s5, s9
	s_addc_u32 s6, s10, s7
	s_addc_u32 s7, s11, 0
	s_mul_i32 s8, s5, s9
	s_add_u32 s6, s6, s8
	v_mov_b32_e32 v12, s6
	s_addc_u32 s7, 0, s7
	v_add_co_u32_e32 v12, vcc, s4, v12
	s_cmp_lg_u64 vcc, 0
	s_addc_u32 s4, s5, s7
	v_readfirstlane_b32 s7, v12
	s_mul_i32 s6, s0, s4
	s_mul_hi_u32 s8, s0, s7
	s_mul_hi_u32 s5, s0, s4
	s_add_u32 s6, s8, s6
	s_addc_u32 s5, 0, s5
	s_mul_hi_u32 s9, s1, s7
	s_mul_i32 s7, s1, s7
	s_add_u32 s6, s6, s7
	s_mul_hi_u32 s8, s1, s4
	s_addc_u32 s5, s5, s9
	s_addc_u32 s6, s8, 0
	s_mul_i32 s4, s1, s4
	s_add_u32 s4, s5, s4
	s_addc_u32 s5, 0, s6
	s_add_u32 s6, s4, 1
	s_addc_u32 s7, s5, 0
	s_add_u32 s8, s4, 2
	s_mul_i32 s10, s5, 10
	s_mul_hi_u32 s11, s4, 10
	s_addc_u32 s9, s5, 0
	s_add_i32 s11, s11, s10
	s_mul_i32 s10, s4, 10
	v_mov_b32_e32 v12, s10
	v_sub_co_u32_e32 v12, vcc, s0, v12
	s_cmp_lg_u64 vcc, 0
	s_subb_u32 s10, s1, s11
	v_subrev_co_u32_e32 v13, vcc, 10, v12
	s_cmp_lg_u64 vcc, 0
	s_subb_u32 s11, s10, 0
	v_readfirstlane_b32 s12, v13
	s_cmp_gt_u32 s12, 9
	s_cselect_b32 s12, -1, 0
	s_cmp_eq_u32 s11, 0
	s_cselect_b32 s11, s12, -1
	s_cmp_lg_u32 s11, 0
	s_cselect_b32 s6, s8, s6
	v_readfirstlane_b32 s8, v12
	s_cselect_b32 s7, s9, s7
	s_cmp_gt_u32 s8, 9
	s_cselect_b32 s8, -1, 0
	s_cmp_eq_u32 s10, 0
	s_cselect_b32 s8, s8, -1
	s_cmp_lg_u32 s8, 0
	s_cselect_b32 s5, s7, s5
	s_cselect_b32 s4, s6, s4
	v_cmp_eq_u64_e32 vcc, s[4:5], v[0:1]
	s_and_saveexec_b64 s[4:5], vcc
	s_cbranch_execz .LBB16_118
; %bb.85:
	v_mul_hi_u32_u24_e32 v1, 10, v0
	v_mov_b32_e32 v12, s1
	v_sub_co_u32_e32 v0, vcc, s0, v23
	v_subb_co_u32_e32 v1, vcc, v12, v1, vcc
	v_cmp_lt_i64_e32 vcc, 4, v[0:1]
	s_and_saveexec_b64 s[0:1], vcc
	s_xor_b64 s[0:1], exec, s[0:1]
	s_cbranch_execz .LBB16_103
; %bb.86:
	v_cmp_lt_i64_e32 vcc, 6, v[0:1]
	s_and_saveexec_b64 s[4:5], vcc
	s_xor_b64 s[4:5], exec, s[4:5]
	s_cbranch_execz .LBB16_96
; %bb.87:
	;; [unrolled: 5-line block ×4, first 2 shown]
	v_mov_b32_e32 v0, 0
	global_store_dword v0, v11, s[2:3]
                                        ; implicit-def: $vgpr10_vgpr11
.LBB16_90:
	s_andn2_saveexec_b64 s[8:9], s[8:9]
	s_cbranch_execz .LBB16_92
; %bb.91:
	v_mov_b32_e32 v0, 0
	global_store_dword v0, v10, s[2:3]
.LBB16_92:
	s_or_b64 exec, exec, s[8:9]
                                        ; implicit-def: $vgpr8_vgpr9
.LBB16_93:
	s_andn2_saveexec_b64 s[6:7], s[6:7]
	s_cbranch_execz .LBB16_95
; %bb.94:
	v_mov_b32_e32 v0, 0
	global_store_dword v0, v9, s[2:3]
.LBB16_95:
	s_or_b64 exec, exec, s[6:7]
                                        ; implicit-def: $vgpr4_vgpr5
                                        ; implicit-def: $vgpr0_vgpr1
                                        ; implicit-def: $vgpr8_vgpr9
.LBB16_96:
	s_andn2_saveexec_b64 s[4:5], s[4:5]
	s_cbranch_execz .LBB16_102
; %bb.97:
	v_cmp_lt_i64_e32 vcc, 5, v[0:1]
	s_and_saveexec_b64 s[6:7], vcc
	s_xor_b64 s[6:7], exec, s[6:7]
	s_cbranch_execz .LBB16_99
; %bb.98:
	v_mov_b32_e32 v0, 0
	global_store_dword v0, v8, s[2:3]
                                        ; implicit-def: $vgpr4_vgpr5
.LBB16_99:
	s_andn2_saveexec_b64 s[6:7], s[6:7]
	s_cbranch_execz .LBB16_101
; %bb.100:
	v_mov_b32_e32 v0, 0
	global_store_dword v0, v5, s[2:3]
.LBB16_101:
	s_or_b64 exec, exec, s[6:7]
.LBB16_102:
	s_or_b64 exec, exec, s[4:5]
                                        ; implicit-def: $vgpr0_vgpr1
                                        ; implicit-def: $vgpr6_vgpr7
                                        ; implicit-def: $vgpr2_vgpr3
                                        ; implicit-def: $vgpr4_vgpr5
.LBB16_103:
	s_andn2_saveexec_b64 s[0:1], s[0:1]
	s_cbranch_execz .LBB16_118
; %bb.104:
	v_cmp_lt_i64_e32 vcc, 2, v[0:1]
	s_and_saveexec_b64 s[0:1], vcc
	s_xor_b64 s[0:1], exec, s[0:1]
	s_cbranch_execz .LBB16_110
; %bb.105:
	v_cmp_lt_i64_e32 vcc, 3, v[0:1]
	s_and_saveexec_b64 s[4:5], vcc
	s_xor_b64 s[4:5], exec, s[4:5]
	s_cbranch_execz .LBB16_107
; %bb.106:
	v_mov_b32_e32 v0, 0
	global_store_dword v0, v4, s[2:3]
                                        ; implicit-def: $vgpr6_vgpr7
.LBB16_107:
	s_andn2_saveexec_b64 s[4:5], s[4:5]
	s_cbranch_execz .LBB16_109
; %bb.108:
	v_mov_b32_e32 v0, 0
	global_store_dword v0, v7, s[2:3]
.LBB16_109:
	s_or_b64 exec, exec, s[4:5]
                                        ; implicit-def: $vgpr0_vgpr1
                                        ; implicit-def: $vgpr6_vgpr7
                                        ; implicit-def: $vgpr2_vgpr3
.LBB16_110:
	s_andn2_saveexec_b64 s[0:1], s[0:1]
	s_cbranch_execz .LBB16_118
; %bb.111:
	v_cmp_lt_i64_e32 vcc, 1, v[0:1]
	s_and_saveexec_b64 s[0:1], vcc
	s_xor_b64 s[0:1], exec, s[0:1]
	s_cbranch_execz .LBB16_113
; %bb.112:
	v_mov_b32_e32 v0, 0
	global_store_dword v0, v6, s[2:3]
                                        ; implicit-def: $vgpr2_vgpr3
                                        ; implicit-def: $vgpr0_vgpr1
.LBB16_113:
	s_andn2_saveexec_b64 s[0:1], s[0:1]
	s_cbranch_execz .LBB16_118
; %bb.114:
	v_cmp_ne_u64_e32 vcc, 1, v[0:1]
	s_and_saveexec_b64 s[0:1], vcc
	s_xor_b64 s[0:1], exec, s[0:1]
	s_cbranch_execz .LBB16_116
; %bb.115:
	v_mov_b32_e32 v0, 0
	global_store_dword v0, v2, s[2:3]
                                        ; implicit-def: $vgpr2_vgpr3
.LBB16_116:
	s_andn2_saveexec_b64 s[0:1], s[0:1]
	s_cbranch_execz .LBB16_118
; %bb.117:
	v_mov_b32_e32 v0, 0
	global_store_dword v0, v3, s[2:3]
.LBB16_118:
	s_endpgm
	.section	.rodata,"a",@progbits
	.p2align	6, 0x0
	.amdhsa_kernel _ZN7rocprim17ROCPRIM_304000_NS6detail20lookback_scan_kernelILNS1_25lookback_scan_determinismE0ELb1ENS1_19wrapped_scan_configINS0_14default_configEiEEPKiPiN2at4cuda3cub12_GLOBAL__N_15SumOpIiEEiiNS1_19lookback_scan_stateIiLb0ELb1EEEEEvT2_T3_mT5_T4_T7_jPT6_SO_bb
		.amdhsa_group_segment_fixed_size 5120
		.amdhsa_private_segment_fixed_size 0
		.amdhsa_kernarg_size 68
		.amdhsa_user_sgpr_count 6
		.amdhsa_user_sgpr_private_segment_buffer 1
		.amdhsa_user_sgpr_dispatch_ptr 0
		.amdhsa_user_sgpr_queue_ptr 0
		.amdhsa_user_sgpr_kernarg_segment_ptr 1
		.amdhsa_user_sgpr_dispatch_id 0
		.amdhsa_user_sgpr_flat_scratch_init 0
		.amdhsa_user_sgpr_kernarg_preload_length 0
		.amdhsa_user_sgpr_kernarg_preload_offset 0
		.amdhsa_user_sgpr_private_segment_size 0
		.amdhsa_uses_dynamic_stack 0
		.amdhsa_system_sgpr_private_segment_wavefront_offset 0
		.amdhsa_system_sgpr_workgroup_id_x 1
		.amdhsa_system_sgpr_workgroup_id_y 0
		.amdhsa_system_sgpr_workgroup_id_z 0
		.amdhsa_system_sgpr_workgroup_info 0
		.amdhsa_system_vgpr_workitem_id 0
		.amdhsa_next_free_vgpr 41
		.amdhsa_next_free_sgpr 28
		.amdhsa_accum_offset 44
		.amdhsa_reserve_vcc 1
		.amdhsa_reserve_flat_scratch 0
		.amdhsa_float_round_mode_32 0
		.amdhsa_float_round_mode_16_64 0
		.amdhsa_float_denorm_mode_32 3
		.amdhsa_float_denorm_mode_16_64 3
		.amdhsa_dx10_clamp 1
		.amdhsa_ieee_mode 1
		.amdhsa_fp16_overflow 0
		.amdhsa_tg_split 0
		.amdhsa_exception_fp_ieee_invalid_op 0
		.amdhsa_exception_fp_denorm_src 0
		.amdhsa_exception_fp_ieee_div_zero 0
		.amdhsa_exception_fp_ieee_overflow 0
		.amdhsa_exception_fp_ieee_underflow 0
		.amdhsa_exception_fp_ieee_inexact 0
		.amdhsa_exception_int_div_zero 0
	.end_amdhsa_kernel
	.section	.text._ZN7rocprim17ROCPRIM_304000_NS6detail20lookback_scan_kernelILNS1_25lookback_scan_determinismE0ELb1ENS1_19wrapped_scan_configINS0_14default_configEiEEPKiPiN2at4cuda3cub12_GLOBAL__N_15SumOpIiEEiiNS1_19lookback_scan_stateIiLb0ELb1EEEEEvT2_T3_mT5_T4_T7_jPT6_SO_bb,"axG",@progbits,_ZN7rocprim17ROCPRIM_304000_NS6detail20lookback_scan_kernelILNS1_25lookback_scan_determinismE0ELb1ENS1_19wrapped_scan_configINS0_14default_configEiEEPKiPiN2at4cuda3cub12_GLOBAL__N_15SumOpIiEEiiNS1_19lookback_scan_stateIiLb0ELb1EEEEEvT2_T3_mT5_T4_T7_jPT6_SO_bb,comdat
.Lfunc_end16:
	.size	_ZN7rocprim17ROCPRIM_304000_NS6detail20lookback_scan_kernelILNS1_25lookback_scan_determinismE0ELb1ENS1_19wrapped_scan_configINS0_14default_configEiEEPKiPiN2at4cuda3cub12_GLOBAL__N_15SumOpIiEEiiNS1_19lookback_scan_stateIiLb0ELb1EEEEEvT2_T3_mT5_T4_T7_jPT6_SO_bb, .Lfunc_end16-_ZN7rocprim17ROCPRIM_304000_NS6detail20lookback_scan_kernelILNS1_25lookback_scan_determinismE0ELb1ENS1_19wrapped_scan_configINS0_14default_configEiEEPKiPiN2at4cuda3cub12_GLOBAL__N_15SumOpIiEEiiNS1_19lookback_scan_stateIiLb0ELb1EEEEEvT2_T3_mT5_T4_T7_jPT6_SO_bb
                                        ; -- End function
	.section	.AMDGPU.csdata,"",@progbits
; Kernel info:
; codeLenInByte = 4336
; NumSgprs: 32
; NumVgprs: 41
; NumAgprs: 0
; TotalNumVgprs: 41
; ScratchSize: 0
; MemoryBound: 0
; FloatMode: 240
; IeeeMode: 1
; LDSByteSize: 5120 bytes/workgroup (compile time only)
; SGPRBlocks: 3
; VGPRBlocks: 5
; NumSGPRsForWavesPerEU: 32
; NumVGPRsForWavesPerEU: 41
; AccumOffset: 44
; Occupancy: 6
; WaveLimiterHint : 1
; COMPUTE_PGM_RSRC2:SCRATCH_EN: 0
; COMPUTE_PGM_RSRC2:USER_SGPR: 6
; COMPUTE_PGM_RSRC2:TRAP_HANDLER: 0
; COMPUTE_PGM_RSRC2:TGID_X_EN: 1
; COMPUTE_PGM_RSRC2:TGID_Y_EN: 0
; COMPUTE_PGM_RSRC2:TGID_Z_EN: 0
; COMPUTE_PGM_RSRC2:TIDIG_COMP_CNT: 0
; COMPUTE_PGM_RSRC3_GFX90A:ACCUM_OFFSET: 10
; COMPUTE_PGM_RSRC3_GFX90A:TG_SPLIT: 0
	.section	.text._ZN7rocprim17ROCPRIM_304000_NS6detail18single_scan_kernelILb1ENS1_19wrapped_scan_configINS0_14default_configEiEEPKiPiN2at4cuda3cub12_GLOBAL__N_15SumOpIiEEiiEEvT1_mT4_T2_T3_,"axG",@progbits,_ZN7rocprim17ROCPRIM_304000_NS6detail18single_scan_kernelILb1ENS1_19wrapped_scan_configINS0_14default_configEiEEPKiPiN2at4cuda3cub12_GLOBAL__N_15SumOpIiEEiiEEvT1_mT4_T2_T3_,comdat
	.globl	_ZN7rocprim17ROCPRIM_304000_NS6detail18single_scan_kernelILb1ENS1_19wrapped_scan_configINS0_14default_configEiEEPKiPiN2at4cuda3cub12_GLOBAL__N_15SumOpIiEEiiEEvT1_mT4_T2_T3_ ; -- Begin function _ZN7rocprim17ROCPRIM_304000_NS6detail18single_scan_kernelILb1ENS1_19wrapped_scan_configINS0_14default_configEiEEPKiPiN2at4cuda3cub12_GLOBAL__N_15SumOpIiEEiiEEvT1_mT4_T2_T3_
	.p2align	8
	.type	_ZN7rocprim17ROCPRIM_304000_NS6detail18single_scan_kernelILb1ENS1_19wrapped_scan_configINS0_14default_configEiEEPKiPiN2at4cuda3cub12_GLOBAL__N_15SumOpIiEEiiEEvT1_mT4_T2_T3_,@function
_ZN7rocprim17ROCPRIM_304000_NS6detail18single_scan_kernelILb1ENS1_19wrapped_scan_configINS0_14default_configEiEEPKiPiN2at4cuda3cub12_GLOBAL__N_15SumOpIiEEiiEEvT1_mT4_T2_T3_: ; @_ZN7rocprim17ROCPRIM_304000_NS6detail18single_scan_kernelILb1ENS1_19wrapped_scan_configINS0_14default_configEiEEPKiPiN2at4cuda3cub12_GLOBAL__N_15SumOpIiEEiiEEvT1_mT4_T2_T3_
; %bb.0:
	s_load_dwordx4 s[20:23], s[4:5], 0x0
	v_lshlrev_b32_e32 v14, 2, v0
	s_waitcnt lgkmcnt(0)
	s_load_dword s8, s[20:21], 0x0
	v_mov_b32_e32 v1, s21
	v_add_co_u32_e32 v12, vcc, s20, v14
	v_addc_co_u32_e32 v13, vcc, 0, v1, vcc
	s_waitcnt lgkmcnt(0)
	s_mov_b32 s9, s8
	s_mov_b32 s10, s8
	;; [unrolled: 1-line block ×9, first 2 shown]
	v_pk_mov_b32 v[2:3], s[8:9], s[8:9] op_sel:[0,1]
	v_cmp_gt_u32_e64 s[0:1], s22, v0
	v_pk_mov_b32 v[4:5], s[10:11], s[10:11] op_sel:[0,1]
	v_pk_mov_b32 v[6:7], s[12:13], s[12:13] op_sel:[0,1]
	;; [unrolled: 1-line block ×4, first 2 shown]
	v_mov_b32_e32 v1, s8
	s_and_saveexec_b64 s[2:3], s[0:1]
	s_cbranch_execz .LBB17_2
; %bb.1:
	global_load_dword v1, v[12:13], off
	v_pk_mov_b32 v[2:3], s[8:9], s[8:9] op_sel:[0,1]
	v_pk_mov_b32 v[4:5], s[10:11], s[10:11] op_sel:[0,1]
	;; [unrolled: 1-line block ×5, first 2 shown]
                                        ; kill: def $vgpr2 killed $vgpr1 killed $exec
.LBB17_2:
	s_or_b64 exec, exec, s[2:3]
	v_or_b32_e32 v2, 0x80, v0
	v_cmp_gt_u32_e64 s[2:3], s22, v2
	s_and_saveexec_b64 s[6:7], s[2:3]
	s_cbranch_execz .LBB17_4
; %bb.3:
	global_load_dword v3, v[12:13], off offset:512
.LBB17_4:
	s_or_b64 exec, exec, s[6:7]
	v_or_b32_e32 v2, 0x100, v0
	v_cmp_gt_u32_e64 s[6:7], s22, v2
	s_and_saveexec_b64 s[8:9], s[6:7]
	s_cbranch_execz .LBB17_6
; %bb.5:
	global_load_dword v4, v[12:13], off offset:1024
.LBB17_6:
	;; [unrolled: 8-line block ×7, first 2 shown]
	s_or_b64 exec, exec, s[18:19]
	v_or_b32_e32 v2, 0x400, v0
	v_cmp_gt_u32_e64 s[18:19], s22, v2
	s_and_saveexec_b64 s[20:21], s[18:19]
	s_cbranch_execz .LBB17_18
; %bb.17:
	v_add_co_u32_e32 v16, vcc, 0x1000, v12
	v_addc_co_u32_e32 v17, vcc, 0, v13, vcc
	global_load_dword v10, v[16:17], off
.LBB17_18:
	s_or_b64 exec, exec, s[20:21]
	v_or_b32_e32 v2, 0x480, v0
	v_cmp_gt_u32_e64 s[20:21], s22, v2
	s_and_saveexec_b64 s[22:23], s[20:21]
	s_cbranch_execz .LBB17_20
; %bb.19:
	v_add_co_u32_e32 v12, vcc, 0x1000, v12
	v_addc_co_u32_e32 v13, vcc, 0, v13, vcc
	global_load_dword v11, v[12:13], off offset:512
.LBB17_20:
	s_or_b64 exec, exec, s[22:23]
	s_waitcnt vmcnt(0)
	ds_write2st64_b32 v14, v1, v3 offset1:2
	ds_write2st64_b32 v14, v4, v5 offset0:4 offset1:6
	ds_write2st64_b32 v14, v6, v7 offset0:8 offset1:10
	;; [unrolled: 1-line block ×4, first 2 shown]
	v_mad_u32_u24 v1, v0, 36, v14
	s_waitcnt lgkmcnt(0)
	s_barrier
	ds_read2_b64 v[6:9], v1 offset1:1
	ds_read2_b64 v[2:5], v1 offset0:2 offset1:3
	ds_read_b64 v[10:11], v1 offset:32
	v_cmp_gt_u32_e32 vcc, 64, v0
	s_waitcnt lgkmcnt(0)
	v_add_u32_e32 v1, v7, v6
	v_add3_u32 v1, v1, v8, v9
	v_add3_u32 v1, v1, v2, v3
	;; [unrolled: 1-line block ×4, first 2 shown]
	v_lshrrev_b32_e32 v11, 3, v0
	v_and_b32_e32 v11, 12, v11
	v_add_u32_e32 v11, v14, v11
	s_barrier
	ds_write_b32 v11, v1
	s_waitcnt lgkmcnt(0)
	s_barrier
	s_and_saveexec_b64 s[22:23], vcc
	s_cbranch_execz .LBB17_22
; %bb.21:
	v_lshlrev_b32_e32 v11, 1, v0
	v_lshrrev_b32_e32 v12, 4, v0
	v_add_lshl_u32 v11, v12, v11, 2
	ds_read2_b32 v[12:13], v11 offset1:1
	v_mbcnt_lo_u32_b32 v15, -1, 0
	v_mbcnt_hi_u32_b32 v15, -1, v15
	v_and_b32_e32 v16, 15, v15
	v_cmp_ne_u32_e32 vcc, 0, v16
	s_waitcnt lgkmcnt(0)
	v_add_u32_e32 v17, v13, v12
	s_nop 1
	v_mov_b32_dpp v18, v17 row_shr:1 row_mask:0xf bank_mask:0xf
	v_cndmask_b32_e32 v18, 0, v18, vcc
	v_add_u32_e32 v17, v18, v17
	v_cmp_lt_u32_e32 vcc, 1, v16
	s_nop 0
	v_mov_b32_dpp v18, v17 row_shr:2 row_mask:0xf bank_mask:0xf
	v_cndmask_b32_e32 v18, 0, v18, vcc
	v_add_u32_e32 v17, v17, v18
	v_cmp_lt_u32_e32 vcc, 3, v16
	;; [unrolled: 5-line block ×3, first 2 shown]
	s_nop 0
	v_mov_b32_dpp v18, v17 row_shr:8 row_mask:0xf bank_mask:0xf
	v_cndmask_b32_e32 v16, 0, v18, vcc
	v_add_u32_e32 v16, v17, v16
	v_bfe_i32 v18, v15, 4, 1
	v_cmp_lt_u32_e32 vcc, 31, v15
	v_mov_b32_dpp v17, v16 row_bcast:15 row_mask:0xf bank_mask:0xf
	v_and_b32_e32 v17, v18, v17
	v_add_u32_e32 v16, v16, v17
	v_and_b32_e32 v18, 64, v15
	s_nop 0
	v_mov_b32_dpp v17, v16 row_bcast:31 row_mask:0xf bank_mask:0xf
	v_cndmask_b32_e32 v17, 0, v17, vcc
	v_add_u32_e32 v16, v16, v17
	v_add_u32_e32 v17, -1, v15
	v_cmp_lt_i32_e32 vcc, v17, v18
	v_cndmask_b32_e32 v15, v17, v15, vcc
	v_lshlrev_b32_e32 v15, 2, v15
	ds_bpermute_b32 v15, v15, v16
	v_cmp_eq_u32_e32 vcc, 0, v0
	s_waitcnt lgkmcnt(0)
	v_add_u32_e32 v12, v15, v12
	v_cndmask_b32_e32 v1, v12, v1, vcc
	v_add_u32_e32 v12, v1, v13
	ds_write2_b32 v11, v1, v12 offset1:1
.LBB17_22:
	s_or_b64 exec, exec, s[22:23]
	s_load_dword s24, s[4:5], 0x10
	v_mul_u32_u24_e32 v1, 36, v0
	v_cmp_ne_u32_e32 vcc, 0, v0
	s_waitcnt lgkmcnt(0)
	s_barrier
	v_mov_b32_e32 v12, s24
	s_and_saveexec_b64 s[22:23], vcc
	s_cbranch_execz .LBB17_24
; %bb.23:
	v_add_u32_e32 v0, -1, v0
	v_lshrrev_b32_e32 v11, 5, v0
	v_add_lshl_u32 v0, v11, v0, 2
	ds_read_b32 v0, v0
	s_waitcnt lgkmcnt(0)
	v_add_u32_e32 v12, s24, v0
.LBB17_24:
	s_or_b64 exec, exec, s[22:23]
	v_add_u32_e32 v13, v12, v6
	v_add_u32_e32 v6, v13, v7
	;; [unrolled: 1-line block ×10, first 2 shown]
	s_barrier
	ds_write2_b64 v0, v[12:13], v[6:7] offset1:1
	ds_write2_b64 v0, v[8:9], v[2:3] offset0:2 offset1:3
	ds_write_b64 v0, v[4:5] offset:32
	s_waitcnt lgkmcnt(0)
	s_barrier
	ds_read2st64_b32 v[8:9], v14 offset0:2 offset1:4
	ds_read2st64_b32 v[6:7], v14 offset0:6 offset1:8
	;; [unrolled: 1-line block ×4, first 2 shown]
	ds_read_b32 v10, v14 offset:4608
	s_load_dwordx2 s[4:5], s[4:5], 0x18
	s_waitcnt lgkmcnt(0)
	v_mov_b32_e32 v1, s5
	v_add_co_u32_e32 v0, vcc, s4, v14
	v_addc_co_u32_e32 v1, vcc, 0, v1, vcc
	s_and_saveexec_b64 s[4:5], s[0:1]
	s_cbranch_execnz .LBB17_35
; %bb.25:
	s_or_b64 exec, exec, s[4:5]
	s_and_saveexec_b64 s[0:1], s[2:3]
	s_cbranch_execnz .LBB17_36
.LBB17_26:
	s_or_b64 exec, exec, s[0:1]
	s_and_saveexec_b64 s[0:1], s[6:7]
	s_cbranch_execnz .LBB17_37
.LBB17_27:
	s_or_b64 exec, exec, s[0:1]
	s_and_saveexec_b64 s[0:1], s[8:9]
	s_cbranch_execnz .LBB17_38
.LBB17_28:
	s_or_b64 exec, exec, s[0:1]
	s_and_saveexec_b64 s[0:1], s[10:11]
	s_cbranch_execnz .LBB17_39
.LBB17_29:
	s_or_b64 exec, exec, s[0:1]
	s_and_saveexec_b64 s[0:1], s[12:13]
	s_cbranch_execnz .LBB17_40
.LBB17_30:
	s_or_b64 exec, exec, s[0:1]
	s_and_saveexec_b64 s[0:1], s[14:15]
	s_cbranch_execnz .LBB17_41
.LBB17_31:
	s_or_b64 exec, exec, s[0:1]
	s_and_saveexec_b64 s[0:1], s[16:17]
	s_cbranch_execnz .LBB17_42
.LBB17_32:
	s_or_b64 exec, exec, s[0:1]
	s_and_saveexec_b64 s[0:1], s[18:19]
	s_cbranch_execnz .LBB17_43
.LBB17_33:
	s_or_b64 exec, exec, s[0:1]
	s_and_saveexec_b64 s[0:1], s[20:21]
	s_cbranch_execnz .LBB17_44
.LBB17_34:
	s_endpgm
.LBB17_35:
	ds_read_b32 v11, v14
	s_waitcnt lgkmcnt(0)
	global_store_dword v[0:1], v11, off
	s_or_b64 exec, exec, s[4:5]
	s_and_saveexec_b64 s[0:1], s[2:3]
	s_cbranch_execz .LBB17_26
.LBB17_36:
	global_store_dword v[0:1], v8, off offset:512
	s_or_b64 exec, exec, s[0:1]
	s_and_saveexec_b64 s[0:1], s[6:7]
	s_cbranch_execz .LBB17_27
.LBB17_37:
	global_store_dword v[0:1], v9, off offset:1024
	s_or_b64 exec, exec, s[0:1]
	s_and_saveexec_b64 s[0:1], s[8:9]
	s_cbranch_execz .LBB17_28
.LBB17_38:
	global_store_dword v[0:1], v6, off offset:1536
	s_or_b64 exec, exec, s[0:1]
	s_and_saveexec_b64 s[0:1], s[10:11]
	s_cbranch_execz .LBB17_29
.LBB17_39:
	global_store_dword v[0:1], v7, off offset:2048
	s_or_b64 exec, exec, s[0:1]
	s_and_saveexec_b64 s[0:1], s[12:13]
	s_cbranch_execz .LBB17_30
.LBB17_40:
	global_store_dword v[0:1], v4, off offset:2560
	s_or_b64 exec, exec, s[0:1]
	s_and_saveexec_b64 s[0:1], s[14:15]
	s_cbranch_execz .LBB17_31
.LBB17_41:
	global_store_dword v[0:1], v5, off offset:3072
	s_or_b64 exec, exec, s[0:1]
	s_and_saveexec_b64 s[0:1], s[16:17]
	s_cbranch_execz .LBB17_32
.LBB17_42:
	global_store_dword v[0:1], v2, off offset:3584
	s_or_b64 exec, exec, s[0:1]
	s_and_saveexec_b64 s[0:1], s[18:19]
	s_cbranch_execz .LBB17_33
.LBB17_43:
	v_add_co_u32_e32 v4, vcc, 0x1000, v0
	v_addc_co_u32_e32 v5, vcc, 0, v1, vcc
	global_store_dword v[4:5], v3, off
	s_or_b64 exec, exec, s[0:1]
	s_and_saveexec_b64 s[0:1], s[20:21]
	s_cbranch_execz .LBB17_34
.LBB17_44:
	v_add_co_u32_e32 v0, vcc, 0x1000, v0
	v_addc_co_u32_e32 v1, vcc, 0, v1, vcc
	global_store_dword v[0:1], v10, off offset:512
	s_endpgm
	.section	.rodata,"a",@progbits
	.p2align	6, 0x0
	.amdhsa_kernel _ZN7rocprim17ROCPRIM_304000_NS6detail18single_scan_kernelILb1ENS1_19wrapped_scan_configINS0_14default_configEiEEPKiPiN2at4cuda3cub12_GLOBAL__N_15SumOpIiEEiiEEvT1_mT4_T2_T3_
		.amdhsa_group_segment_fixed_size 5120
		.amdhsa_private_segment_fixed_size 0
		.amdhsa_kernarg_size 36
		.amdhsa_user_sgpr_count 6
		.amdhsa_user_sgpr_private_segment_buffer 1
		.amdhsa_user_sgpr_dispatch_ptr 0
		.amdhsa_user_sgpr_queue_ptr 0
		.amdhsa_user_sgpr_kernarg_segment_ptr 1
		.amdhsa_user_sgpr_dispatch_id 0
		.amdhsa_user_sgpr_flat_scratch_init 0
		.amdhsa_user_sgpr_kernarg_preload_length 0
		.amdhsa_user_sgpr_kernarg_preload_offset 0
		.amdhsa_user_sgpr_private_segment_size 0
		.amdhsa_uses_dynamic_stack 0
		.amdhsa_system_sgpr_private_segment_wavefront_offset 0
		.amdhsa_system_sgpr_workgroup_id_x 1
		.amdhsa_system_sgpr_workgroup_id_y 0
		.amdhsa_system_sgpr_workgroup_id_z 0
		.amdhsa_system_sgpr_workgroup_info 0
		.amdhsa_system_vgpr_workitem_id 0
		.amdhsa_next_free_vgpr 19
		.amdhsa_next_free_sgpr 25
		.amdhsa_accum_offset 20
		.amdhsa_reserve_vcc 1
		.amdhsa_reserve_flat_scratch 0
		.amdhsa_float_round_mode_32 0
		.amdhsa_float_round_mode_16_64 0
		.amdhsa_float_denorm_mode_32 3
		.amdhsa_float_denorm_mode_16_64 3
		.amdhsa_dx10_clamp 1
		.amdhsa_ieee_mode 1
		.amdhsa_fp16_overflow 0
		.amdhsa_tg_split 0
		.amdhsa_exception_fp_ieee_invalid_op 0
		.amdhsa_exception_fp_denorm_src 0
		.amdhsa_exception_fp_ieee_div_zero 0
		.amdhsa_exception_fp_ieee_overflow 0
		.amdhsa_exception_fp_ieee_underflow 0
		.amdhsa_exception_fp_ieee_inexact 0
		.amdhsa_exception_int_div_zero 0
	.end_amdhsa_kernel
	.section	.text._ZN7rocprim17ROCPRIM_304000_NS6detail18single_scan_kernelILb1ENS1_19wrapped_scan_configINS0_14default_configEiEEPKiPiN2at4cuda3cub12_GLOBAL__N_15SumOpIiEEiiEEvT1_mT4_T2_T3_,"axG",@progbits,_ZN7rocprim17ROCPRIM_304000_NS6detail18single_scan_kernelILb1ENS1_19wrapped_scan_configINS0_14default_configEiEEPKiPiN2at4cuda3cub12_GLOBAL__N_15SumOpIiEEiiEEvT1_mT4_T2_T3_,comdat
.Lfunc_end17:
	.size	_ZN7rocprim17ROCPRIM_304000_NS6detail18single_scan_kernelILb1ENS1_19wrapped_scan_configINS0_14default_configEiEEPKiPiN2at4cuda3cub12_GLOBAL__N_15SumOpIiEEiiEEvT1_mT4_T2_T3_, .Lfunc_end17-_ZN7rocprim17ROCPRIM_304000_NS6detail18single_scan_kernelILb1ENS1_19wrapped_scan_configINS0_14default_configEiEEPKiPiN2at4cuda3cub12_GLOBAL__N_15SumOpIiEEiiEEvT1_mT4_T2_T3_
                                        ; -- End function
	.section	.AMDGPU.csdata,"",@progbits
; Kernel info:
; codeLenInByte = 1520
; NumSgprs: 29
; NumVgprs: 19
; NumAgprs: 0
; TotalNumVgprs: 19
; ScratchSize: 0
; MemoryBound: 0
; FloatMode: 240
; IeeeMode: 1
; LDSByteSize: 5120 bytes/workgroup (compile time only)
; SGPRBlocks: 3
; VGPRBlocks: 2
; NumSGPRsForWavesPerEU: 29
; NumVGPRsForWavesPerEU: 19
; AccumOffset: 20
; Occupancy: 6
; WaveLimiterHint : 0
; COMPUTE_PGM_RSRC2:SCRATCH_EN: 0
; COMPUTE_PGM_RSRC2:USER_SGPR: 6
; COMPUTE_PGM_RSRC2:TRAP_HANDLER: 0
; COMPUTE_PGM_RSRC2:TGID_X_EN: 1
; COMPUTE_PGM_RSRC2:TGID_Y_EN: 0
; COMPUTE_PGM_RSRC2:TGID_Z_EN: 0
; COMPUTE_PGM_RSRC2:TIDIG_COMP_CNT: 0
; COMPUTE_PGM_RSRC3_GFX90A:ACCUM_OFFSET: 4
; COMPUTE_PGM_RSRC3_GFX90A:TG_SPLIT: 0
	.section	.text._ZN7rocprim17ROCPRIM_304000_NS6detail20lookback_scan_kernelILNS1_25lookback_scan_determinismE0ELb1ENS1_19wrapped_scan_configINS0_14default_configElEEPKlPlN2at4cuda3cub12_GLOBAL__N_15SumOpIlEEllNS1_19lookback_scan_stateIlLb1ELb1EEEEEvT2_T3_mT5_T4_T7_jPT6_SO_bb,"axG",@progbits,_ZN7rocprim17ROCPRIM_304000_NS6detail20lookback_scan_kernelILNS1_25lookback_scan_determinismE0ELb1ENS1_19wrapped_scan_configINS0_14default_configElEEPKlPlN2at4cuda3cub12_GLOBAL__N_15SumOpIlEEllNS1_19lookback_scan_stateIlLb1ELb1EEEEEvT2_T3_mT5_T4_T7_jPT6_SO_bb,comdat
	.globl	_ZN7rocprim17ROCPRIM_304000_NS6detail20lookback_scan_kernelILNS1_25lookback_scan_determinismE0ELb1ENS1_19wrapped_scan_configINS0_14default_configElEEPKlPlN2at4cuda3cub12_GLOBAL__N_15SumOpIlEEllNS1_19lookback_scan_stateIlLb1ELb1EEEEEvT2_T3_mT5_T4_T7_jPT6_SO_bb ; -- Begin function _ZN7rocprim17ROCPRIM_304000_NS6detail20lookback_scan_kernelILNS1_25lookback_scan_determinismE0ELb1ENS1_19wrapped_scan_configINS0_14default_configElEEPKlPlN2at4cuda3cub12_GLOBAL__N_15SumOpIlEEllNS1_19lookback_scan_stateIlLb1ELb1EEEEEvT2_T3_mT5_T4_T7_jPT6_SO_bb
	.p2align	8
	.type	_ZN7rocprim17ROCPRIM_304000_NS6detail20lookback_scan_kernelILNS1_25lookback_scan_determinismE0ELb1ENS1_19wrapped_scan_configINS0_14default_configElEEPKlPlN2at4cuda3cub12_GLOBAL__N_15SumOpIlEEllNS1_19lookback_scan_stateIlLb1ELb1EEEEEvT2_T3_mT5_T4_T7_jPT6_SO_bb,@function
_ZN7rocprim17ROCPRIM_304000_NS6detail20lookback_scan_kernelILNS1_25lookback_scan_determinismE0ELb1ENS1_19wrapped_scan_configINS0_14default_configElEEPKlPlN2at4cuda3cub12_GLOBAL__N_15SumOpIlEEllNS1_19lookback_scan_stateIlLb1ELb1EEEEEvT2_T3_mT5_T4_T7_jPT6_SO_bb: ; @_ZN7rocprim17ROCPRIM_304000_NS6detail20lookback_scan_kernelILNS1_25lookback_scan_determinismE0ELb1ENS1_19wrapped_scan_configINS0_14default_configElEEPKlPlN2at4cuda3cub12_GLOBAL__N_15SumOpIlEEllNS1_19lookback_scan_stateIlLb1ELb1EEEEEvT2_T3_mT5_T4_T7_jPT6_SO_bb
; %bb.0:
	s_endpgm
	.section	.rodata,"a",@progbits
	.p2align	6, 0x0
	.amdhsa_kernel _ZN7rocprim17ROCPRIM_304000_NS6detail20lookback_scan_kernelILNS1_25lookback_scan_determinismE0ELb1ENS1_19wrapped_scan_configINS0_14default_configElEEPKlPlN2at4cuda3cub12_GLOBAL__N_15SumOpIlEEllNS1_19lookback_scan_stateIlLb1ELb1EEEEEvT2_T3_mT5_T4_T7_jPT6_SO_bb
		.amdhsa_group_segment_fixed_size 0
		.amdhsa_private_segment_fixed_size 0
		.amdhsa_kernarg_size 76
		.amdhsa_user_sgpr_count 6
		.amdhsa_user_sgpr_private_segment_buffer 1
		.amdhsa_user_sgpr_dispatch_ptr 0
		.amdhsa_user_sgpr_queue_ptr 0
		.amdhsa_user_sgpr_kernarg_segment_ptr 1
		.amdhsa_user_sgpr_dispatch_id 0
		.amdhsa_user_sgpr_flat_scratch_init 0
		.amdhsa_user_sgpr_kernarg_preload_length 0
		.amdhsa_user_sgpr_kernarg_preload_offset 0
		.amdhsa_user_sgpr_private_segment_size 0
		.amdhsa_uses_dynamic_stack 0
		.amdhsa_system_sgpr_private_segment_wavefront_offset 0
		.amdhsa_system_sgpr_workgroup_id_x 1
		.amdhsa_system_sgpr_workgroup_id_y 0
		.amdhsa_system_sgpr_workgroup_id_z 0
		.amdhsa_system_sgpr_workgroup_info 0
		.amdhsa_system_vgpr_workitem_id 0
		.amdhsa_next_free_vgpr 1
		.amdhsa_next_free_sgpr 0
		.amdhsa_accum_offset 4
		.amdhsa_reserve_vcc 0
		.amdhsa_reserve_flat_scratch 0
		.amdhsa_float_round_mode_32 0
		.amdhsa_float_round_mode_16_64 0
		.amdhsa_float_denorm_mode_32 3
		.amdhsa_float_denorm_mode_16_64 3
		.amdhsa_dx10_clamp 1
		.amdhsa_ieee_mode 1
		.amdhsa_fp16_overflow 0
		.amdhsa_tg_split 0
		.amdhsa_exception_fp_ieee_invalid_op 0
		.amdhsa_exception_fp_denorm_src 0
		.amdhsa_exception_fp_ieee_div_zero 0
		.amdhsa_exception_fp_ieee_overflow 0
		.amdhsa_exception_fp_ieee_underflow 0
		.amdhsa_exception_fp_ieee_inexact 0
		.amdhsa_exception_int_div_zero 0
	.end_amdhsa_kernel
	.section	.text._ZN7rocprim17ROCPRIM_304000_NS6detail20lookback_scan_kernelILNS1_25lookback_scan_determinismE0ELb1ENS1_19wrapped_scan_configINS0_14default_configElEEPKlPlN2at4cuda3cub12_GLOBAL__N_15SumOpIlEEllNS1_19lookback_scan_stateIlLb1ELb1EEEEEvT2_T3_mT5_T4_T7_jPT6_SO_bb,"axG",@progbits,_ZN7rocprim17ROCPRIM_304000_NS6detail20lookback_scan_kernelILNS1_25lookback_scan_determinismE0ELb1ENS1_19wrapped_scan_configINS0_14default_configElEEPKlPlN2at4cuda3cub12_GLOBAL__N_15SumOpIlEEllNS1_19lookback_scan_stateIlLb1ELb1EEEEEvT2_T3_mT5_T4_T7_jPT6_SO_bb,comdat
.Lfunc_end18:
	.size	_ZN7rocprim17ROCPRIM_304000_NS6detail20lookback_scan_kernelILNS1_25lookback_scan_determinismE0ELb1ENS1_19wrapped_scan_configINS0_14default_configElEEPKlPlN2at4cuda3cub12_GLOBAL__N_15SumOpIlEEllNS1_19lookback_scan_stateIlLb1ELb1EEEEEvT2_T3_mT5_T4_T7_jPT6_SO_bb, .Lfunc_end18-_ZN7rocprim17ROCPRIM_304000_NS6detail20lookback_scan_kernelILNS1_25lookback_scan_determinismE0ELb1ENS1_19wrapped_scan_configINS0_14default_configElEEPKlPlN2at4cuda3cub12_GLOBAL__N_15SumOpIlEEllNS1_19lookback_scan_stateIlLb1ELb1EEEEEvT2_T3_mT5_T4_T7_jPT6_SO_bb
                                        ; -- End function
	.section	.AMDGPU.csdata,"",@progbits
; Kernel info:
; codeLenInByte = 4
; NumSgprs: 4
; NumVgprs: 0
; NumAgprs: 0
; TotalNumVgprs: 0
; ScratchSize: 0
; MemoryBound: 0
; FloatMode: 240
; IeeeMode: 1
; LDSByteSize: 0 bytes/workgroup (compile time only)
; SGPRBlocks: 0
; VGPRBlocks: 0
; NumSGPRsForWavesPerEU: 4
; NumVGPRsForWavesPerEU: 1
; AccumOffset: 4
; Occupancy: 8
; WaveLimiterHint : 0
; COMPUTE_PGM_RSRC2:SCRATCH_EN: 0
; COMPUTE_PGM_RSRC2:USER_SGPR: 6
; COMPUTE_PGM_RSRC2:TRAP_HANDLER: 0
; COMPUTE_PGM_RSRC2:TGID_X_EN: 1
; COMPUTE_PGM_RSRC2:TGID_Y_EN: 0
; COMPUTE_PGM_RSRC2:TGID_Z_EN: 0
; COMPUTE_PGM_RSRC2:TIDIG_COMP_CNT: 0
; COMPUTE_PGM_RSRC3_GFX90A:ACCUM_OFFSET: 0
; COMPUTE_PGM_RSRC3_GFX90A:TG_SPLIT: 0
	.section	.text._ZN7rocprim17ROCPRIM_304000_NS6detail20lookback_scan_kernelILNS1_25lookback_scan_determinismE0ELb1ENS1_19wrapped_scan_configINS0_14default_configElEEPKlPlN2at4cuda3cub12_GLOBAL__N_15SumOpIlEEllNS1_19lookback_scan_stateIlLb0ELb1EEEEEvT2_T3_mT5_T4_T7_jPT6_SO_bb,"axG",@progbits,_ZN7rocprim17ROCPRIM_304000_NS6detail20lookback_scan_kernelILNS1_25lookback_scan_determinismE0ELb1ENS1_19wrapped_scan_configINS0_14default_configElEEPKlPlN2at4cuda3cub12_GLOBAL__N_15SumOpIlEEllNS1_19lookback_scan_stateIlLb0ELb1EEEEEvT2_T3_mT5_T4_T7_jPT6_SO_bb,comdat
	.globl	_ZN7rocprim17ROCPRIM_304000_NS6detail20lookback_scan_kernelILNS1_25lookback_scan_determinismE0ELb1ENS1_19wrapped_scan_configINS0_14default_configElEEPKlPlN2at4cuda3cub12_GLOBAL__N_15SumOpIlEEllNS1_19lookback_scan_stateIlLb0ELb1EEEEEvT2_T3_mT5_T4_T7_jPT6_SO_bb ; -- Begin function _ZN7rocprim17ROCPRIM_304000_NS6detail20lookback_scan_kernelILNS1_25lookback_scan_determinismE0ELb1ENS1_19wrapped_scan_configINS0_14default_configElEEPKlPlN2at4cuda3cub12_GLOBAL__N_15SumOpIlEEllNS1_19lookback_scan_stateIlLb0ELb1EEEEEvT2_T3_mT5_T4_T7_jPT6_SO_bb
	.p2align	8
	.type	_ZN7rocprim17ROCPRIM_304000_NS6detail20lookback_scan_kernelILNS1_25lookback_scan_determinismE0ELb1ENS1_19wrapped_scan_configINS0_14default_configElEEPKlPlN2at4cuda3cub12_GLOBAL__N_15SumOpIlEEllNS1_19lookback_scan_stateIlLb0ELb1EEEEEvT2_T3_mT5_T4_T7_jPT6_SO_bb,@function
_ZN7rocprim17ROCPRIM_304000_NS6detail20lookback_scan_kernelILNS1_25lookback_scan_determinismE0ELb1ENS1_19wrapped_scan_configINS0_14default_configElEEPKlPlN2at4cuda3cub12_GLOBAL__N_15SumOpIlEEllNS1_19lookback_scan_stateIlLb0ELb1EEEEEvT2_T3_mT5_T4_T7_jPT6_SO_bb: ; @_ZN7rocprim17ROCPRIM_304000_NS6detail20lookback_scan_kernelILNS1_25lookback_scan_determinismE0ELb1ENS1_19wrapped_scan_configINS0_14default_configElEEPKlPlN2at4cuda3cub12_GLOBAL__N_15SumOpIlEEllNS1_19lookback_scan_stateIlLb0ELb1EEEEEvT2_T3_mT5_T4_T7_jPT6_SO_bb
; %bb.0:
	s_load_dword s1, s[4:5], 0x30
	s_load_dwordx8 s[12:19], s[4:5], 0x0
	s_mul_i32 s0, s6, 0x540
	v_lshlrev_b32_e32 v58, 3, v0
	s_waitcnt lgkmcnt(0)
	s_add_i32 s2, s1, -1
	s_mul_i32 s3, s2, 0x540
	s_sub_u32 s24, s16, s3
	s_subb_u32 s25, s17, 0
	s_mov_b32 s1, 0
	s_cmp_lg_u32 s6, s2
	s_cselect_b64 s[16:17], -1, 0
	s_lshl_b64 s[20:21], s[0:1], 3
	s_add_u32 s8, s12, s20
	s_addc_u32 s9, s13, s21
	s_mov_b64 s[0:1], -1
	s_and_b64 vcc, exec, s[16:17]
	s_cbranch_vccz .LBB19_2
; %bb.1:
	v_mov_b32_e32 v1, s9
	v_add_co_u32_e32 v36, vcc, s8, v58
	v_addc_co_u32_e32 v1, vcc, 0, v1, vcc
	v_add_co_u32_e32 v18, vcc, 0x1000, v36
	v_addc_co_u32_e32 v19, vcc, 0, v1, vcc
	global_load_dwordx2 v[2:3], v58, s[8:9]
	global_load_dwordx2 v[4:5], v58, s[8:9] offset:512
	global_load_dwordx2 v[6:7], v58, s[8:9] offset:1024
	;; [unrolled: 1-line block ×7, first 2 shown]
	global_load_dwordx2 v[20:21], v[18:19], off
	global_load_dwordx2 v[22:23], v[18:19], off offset:512
	global_load_dwordx2 v[24:25], v[18:19], off offset:1024
	;; [unrolled: 1-line block ×7, first 2 shown]
	v_add_co_u32_e32 v18, vcc, 0x2000, v36
	v_addc_co_u32_e32 v19, vcc, 0, v1, vcc
	global_load_dwordx2 v[36:37], v[18:19], off
	global_load_dwordx2 v[38:39], v[18:19], off offset:512
	global_load_dwordx2 v[40:41], v[18:19], off offset:1024
	;; [unrolled: 1-line block ×4, first 2 shown]
	s_mov_b64 s[0:1], 0
	s_waitcnt vmcnt(19)
	ds_write2st64_b64 v58, v[2:3], v[4:5] offset1:1
	s_waitcnt vmcnt(17)
	ds_write2st64_b64 v58, v[6:7], v[8:9] offset0:2 offset1:3
	s_waitcnt vmcnt(15)
	ds_write2st64_b64 v58, v[10:11], v[12:13] offset0:4 offset1:5
	;; [unrolled: 2-line block ×9, first 2 shown]
	s_waitcnt vmcnt(0)
	ds_write_b64 v58, v[44:45] offset:10240
	s_waitcnt lgkmcnt(0)
	; wave barrier
.LBB19_2:
	s_andn2_b64 vcc, exec, s[0:1]
	v_cmp_gt_u32_e64 s[0:1], s24, v0
	s_cbranch_vccnz .LBB19_46
; %bb.3:
	s_load_dwordx2 s[2:3], s[8:9], 0x0
	v_mov_b32_e32 v1, s9
	v_add_co_u32_e32 v4, vcc, s8, v58
	v_addc_co_u32_e32 v5, vcc, 0, v1, vcc
	s_waitcnt lgkmcnt(0)
	v_pk_mov_b32 v[2:3], s[2:3], s[2:3] op_sel:[0,1]
	s_and_saveexec_b64 s[8:9], s[0:1]
	s_cbranch_execz .LBB19_5
; %bb.4:
	global_load_dwordx2 v[2:3], v[4:5], off
.LBB19_5:
	s_or_b64 exec, exec, s[8:9]
	v_or_b32_e32 v1, 64, v0
	v_cmp_gt_u32_e32 vcc, s24, v1
	v_pk_mov_b32 v[6:7], s[2:3], s[2:3] op_sel:[0,1]
	s_and_saveexec_b64 s[0:1], vcc
	s_cbranch_execz .LBB19_7
; %bb.6:
	global_load_dwordx2 v[6:7], v[4:5], off offset:512
.LBB19_7:
	s_or_b64 exec, exec, s[0:1]
	v_or_b32_e32 v1, 0x80, v0
	v_cmp_gt_u32_e32 vcc, s24, v1
	v_pk_mov_b32 v[8:9], s[2:3], s[2:3] op_sel:[0,1]
	s_and_saveexec_b64 s[0:1], vcc
	s_cbranch_execz .LBB19_9
; %bb.8:
	global_load_dwordx2 v[8:9], v[4:5], off offset:1024
.LBB19_9:
	;; [unrolled: 9-line block ×7, first 2 shown]
	s_or_b64 exec, exec, s[0:1]
	v_or_b32_e32 v1, 0x200, v0
	v_cmp_gt_u32_e32 vcc, s24, v1
	v_pk_mov_b32 v[20:21], s[2:3], s[2:3] op_sel:[0,1]
	s_and_saveexec_b64 s[0:1], vcc
	s_cbranch_execz .LBB19_21
; %bb.20:
	v_add_co_u32_e32 v20, vcc, 0x1000, v4
	v_addc_co_u32_e32 v21, vcc, 0, v5, vcc
	global_load_dwordx2 v[20:21], v[20:21], off
.LBB19_21:
	s_or_b64 exec, exec, s[0:1]
	v_or_b32_e32 v1, 0x240, v0
	v_cmp_gt_u32_e32 vcc, s24, v1
	v_pk_mov_b32 v[22:23], s[2:3], s[2:3] op_sel:[0,1]
	s_and_saveexec_b64 s[0:1], vcc
	s_cbranch_execz .LBB19_23
; %bb.22:
	v_add_co_u32_e32 v22, vcc, 0x1000, v4
	v_addc_co_u32_e32 v23, vcc, 0, v5, vcc
	global_load_dwordx2 v[22:23], v[22:23], off offset:512
.LBB19_23:
	s_or_b64 exec, exec, s[0:1]
	v_or_b32_e32 v1, 0x280, v0
	v_cmp_gt_u32_e32 vcc, s24, v1
	v_pk_mov_b32 v[24:25], s[2:3], s[2:3] op_sel:[0,1]
	s_and_saveexec_b64 s[0:1], vcc
	s_cbranch_execz .LBB19_25
; %bb.24:
	v_add_co_u32_e32 v24, vcc, 0x1000, v4
	v_addc_co_u32_e32 v25, vcc, 0, v5, vcc
	global_load_dwordx2 v[24:25], v[24:25], off offset:1024
.LBB19_25:
	s_or_b64 exec, exec, s[0:1]
	v_or_b32_e32 v1, 0x2c0, v0
	v_cmp_gt_u32_e32 vcc, s24, v1
	v_pk_mov_b32 v[26:27], s[2:3], s[2:3] op_sel:[0,1]
	s_and_saveexec_b64 s[0:1], vcc
	s_cbranch_execz .LBB19_27
; %bb.26:
	v_add_co_u32_e32 v26, vcc, 0x1000, v4
	v_addc_co_u32_e32 v27, vcc, 0, v5, vcc
	global_load_dwordx2 v[26:27], v[26:27], off offset:1536
.LBB19_27:
	s_or_b64 exec, exec, s[0:1]
	v_or_b32_e32 v1, 0x300, v0
	v_cmp_gt_u32_e32 vcc, s24, v1
	v_pk_mov_b32 v[28:29], s[2:3], s[2:3] op_sel:[0,1]
	s_and_saveexec_b64 s[0:1], vcc
	s_cbranch_execz .LBB19_29
; %bb.28:
	v_add_co_u32_e32 v28, vcc, 0x1000, v4
	v_addc_co_u32_e32 v29, vcc, 0, v5, vcc
	global_load_dwordx2 v[28:29], v[28:29], off offset:2048
.LBB19_29:
	s_or_b64 exec, exec, s[0:1]
	v_or_b32_e32 v1, 0x340, v0
	v_cmp_gt_u32_e32 vcc, s24, v1
	v_pk_mov_b32 v[30:31], s[2:3], s[2:3] op_sel:[0,1]
	s_and_saveexec_b64 s[0:1], vcc
	s_cbranch_execz .LBB19_31
; %bb.30:
	v_add_co_u32_e32 v30, vcc, 0x1000, v4
	v_addc_co_u32_e32 v31, vcc, 0, v5, vcc
	global_load_dwordx2 v[30:31], v[30:31], off offset:2560
.LBB19_31:
	s_or_b64 exec, exec, s[0:1]
	v_or_b32_e32 v1, 0x380, v0
	v_cmp_gt_u32_e32 vcc, s24, v1
	v_pk_mov_b32 v[32:33], s[2:3], s[2:3] op_sel:[0,1]
	s_and_saveexec_b64 s[0:1], vcc
	s_cbranch_execz .LBB19_33
; %bb.32:
	v_add_co_u32_e32 v32, vcc, 0x1000, v4
	v_addc_co_u32_e32 v33, vcc, 0, v5, vcc
	global_load_dwordx2 v[32:33], v[32:33], off offset:3072
.LBB19_33:
	s_or_b64 exec, exec, s[0:1]
	v_or_b32_e32 v1, 0x3c0, v0
	v_cmp_gt_u32_e32 vcc, s24, v1
	v_pk_mov_b32 v[34:35], s[2:3], s[2:3] op_sel:[0,1]
	s_and_saveexec_b64 s[0:1], vcc
	s_cbranch_execz .LBB19_35
; %bb.34:
	v_add_co_u32_e32 v34, vcc, 0x1000, v4
	v_addc_co_u32_e32 v35, vcc, 0, v5, vcc
	global_load_dwordx2 v[34:35], v[34:35], off offset:3584
.LBB19_35:
	s_or_b64 exec, exec, s[0:1]
	v_or_b32_e32 v1, 0x400, v0
	v_cmp_gt_u32_e32 vcc, s24, v1
	v_pk_mov_b32 v[36:37], s[2:3], s[2:3] op_sel:[0,1]
	s_and_saveexec_b64 s[0:1], vcc
	s_cbranch_execz .LBB19_37
; %bb.36:
	v_add_co_u32_e32 v36, vcc, 0x2000, v4
	v_addc_co_u32_e32 v37, vcc, 0, v5, vcc
	global_load_dwordx2 v[36:37], v[36:37], off
.LBB19_37:
	s_or_b64 exec, exec, s[0:1]
	v_or_b32_e32 v1, 0x440, v0
	v_cmp_gt_u32_e32 vcc, s24, v1
	v_pk_mov_b32 v[38:39], s[2:3], s[2:3] op_sel:[0,1]
	s_and_saveexec_b64 s[0:1], vcc
	s_cbranch_execz .LBB19_39
; %bb.38:
	v_add_co_u32_e32 v38, vcc, 0x2000, v4
	v_addc_co_u32_e32 v39, vcc, 0, v5, vcc
	global_load_dwordx2 v[38:39], v[38:39], off offset:512
.LBB19_39:
	s_or_b64 exec, exec, s[0:1]
	v_or_b32_e32 v1, 0x480, v0
	v_cmp_gt_u32_e32 vcc, s24, v1
	v_pk_mov_b32 v[40:41], s[2:3], s[2:3] op_sel:[0,1]
	s_and_saveexec_b64 s[0:1], vcc
	s_cbranch_execz .LBB19_41
; %bb.40:
	v_add_co_u32_e32 v40, vcc, 0x2000, v4
	v_addc_co_u32_e32 v41, vcc, 0, v5, vcc
	global_load_dwordx2 v[40:41], v[40:41], off offset:1024
.LBB19_41:
	;; [unrolled: 11-line block ×4, first 2 shown]
	s_or_b64 exec, exec, s[0:1]
	s_waitcnt vmcnt(0)
	ds_write2st64_b64 v58, v[2:3], v[6:7] offset1:1
	ds_write2st64_b64 v58, v[8:9], v[10:11] offset0:2 offset1:3
	ds_write2st64_b64 v58, v[12:13], v[14:15] offset0:4 offset1:5
	ds_write2st64_b64 v58, v[16:17], v[18:19] offset0:6 offset1:7
	ds_write2st64_b64 v58, v[20:21], v[22:23] offset0:8 offset1:9
	ds_write2st64_b64 v58, v[24:25], v[26:27] offset0:10 offset1:11
	ds_write2st64_b64 v58, v[28:29], v[30:31] offset0:12 offset1:13
	ds_write2st64_b64 v58, v[32:33], v[34:35] offset0:14 offset1:15
	ds_write2st64_b64 v58, v[36:37], v[38:39] offset0:16 offset1:17
	ds_write2st64_b64 v58, v[40:41], v[42:43] offset0:18 offset1:19
	ds_write_b64 v58, v[44:45] offset:10240
	s_waitcnt lgkmcnt(0)
	; wave barrier
.LBB19_46:
	v_mul_u32_u24_e32 v59, 21, v0
	v_lshlrev_b32_e32 v1, 3, v59
	s_waitcnt lgkmcnt(0)
	ds_read2_b64 v[38:41], v1 offset1:1
	ds_read2_b64 v[34:37], v1 offset0:2 offset1:3
	ds_read2_b64 v[30:33], v1 offset0:4 offset1:5
	;; [unrolled: 1-line block ×9, first 2 shown]
	ds_read_b64 v[50:51], v1 offset:160
	s_load_dwordx2 s[22:23], s[4:5], 0x28
	s_cmp_lg_u32 s6, 0
	v_mbcnt_lo_u32_b32 v60, -1, 0
	s_waitcnt lgkmcnt(0)
	; wave barrier
	s_waitcnt lgkmcnt(0)
	s_cbranch_scc0 .LBB19_71
; %bb.47:
	v_add_co_u32_e32 v1, vcc, v40, v38
	v_addc_co_u32_e32 v42, vcc, v41, v39, vcc
	v_add_co_u32_e32 v1, vcc, v1, v34
	v_addc_co_u32_e32 v42, vcc, v42, v35, vcc
	;; [unrolled: 2-line block ×20, first 2 shown]
	s_nop 0
	v_mov_b32_dpp v44, v42 row_shr:1 row_mask:0xf bank_mask:0xf
	v_add_co_u32_e32 v44, vcc, v42, v44
	v_addc_co_u32_e32 v46, vcc, 0, v43, vcc
	v_mbcnt_hi_u32_b32 v56, -1, v60
	v_mov_b32_dpp v45, v43 row_shr:1 row_mask:0xf bank_mask:0xf
	v_add_co_u32_e32 v47, vcc, 0, v44
	v_and_b32_e32 v1, 15, v56
	v_addc_co_u32_e32 v45, vcc, v45, v46, vcc
	v_cmp_eq_u32_e32 vcc, 0, v1
	v_cndmask_b32_e32 v44, v44, v42, vcc
	v_cndmask_b32_e32 v45, v45, v43, vcc
	v_cndmask_b32_e32 v46, v47, v42, vcc
	v_mov_b32_dpp v47, v44 row_shr:2 row_mask:0xf bank_mask:0xf
	v_mov_b32_dpp v48, v45 row_shr:2 row_mask:0xf bank_mask:0xf
	v_add_co_u32_e32 v47, vcc, v47, v46
	v_addc_co_u32_e32 v48, vcc, v48, v45, vcc
	v_cmp_lt_u32_e32 vcc, 1, v1
	v_cndmask_b32_e32 v44, v44, v47, vcc
	v_cndmask_b32_e32 v45, v45, v48, vcc
	v_cndmask_b32_e32 v46, v46, v47, vcc
	v_mov_b32_dpp v47, v44 row_shr:4 row_mask:0xf bank_mask:0xf
	v_mov_b32_dpp v48, v45 row_shr:4 row_mask:0xf bank_mask:0xf
	v_add_co_u32_e32 v47, vcc, v47, v46
	v_addc_co_u32_e32 v48, vcc, v48, v45, vcc
	v_cmp_lt_u32_e32 vcc, 3, v1
	;; [unrolled: 8-line block ×3, first 2 shown]
	v_cndmask_b32_e32 v49, v44, v47, vcc
	v_cndmask_b32_e32 v1, v45, v48, vcc
	;; [unrolled: 1-line block ×3, first 2 shown]
	v_mov_b32_dpp v45, v49 row_bcast:15 row_mask:0xf bank_mask:0xf
	v_mov_b32_dpp v46, v1 row_bcast:15 row_mask:0xf bank_mask:0xf
	v_add_co_u32_e32 v45, vcc, v45, v44
	v_and_b32_e32 v48, 16, v56
	v_addc_co_u32_e32 v47, vcc, v46, v1, vcc
	v_cmp_eq_u32_e32 vcc, 0, v48
	v_cndmask_b32_e32 v48, v47, v1, vcc
	v_cndmask_b32_e32 v46, v45, v49, vcc
	v_cmp_eq_u32_e64 s[0:1], 0, v56
	v_mov_b32_dpp v48, v48 row_bcast:31 row_mask:0xf bank_mask:0xf
	v_mov_b32_dpp v46, v46 row_bcast:31 row_mask:0xf bank_mask:0xf
	v_cmp_ne_u32_e64 s[2:3], 0, v56
	s_and_saveexec_b64 s[8:9], s[2:3]
; %bb.48:
	v_cndmask_b32_e32 v1, v47, v1, vcc
	v_cndmask_b32_e32 v42, v45, v44, vcc
	v_cmp_lt_u32_e32 vcc, 31, v56
	v_cndmask_b32_e32 v44, 0, v46, vcc
	v_cndmask_b32_e32 v43, 0, v48, vcc
	v_add_co_u32_e32 v42, vcc, v44, v42
	v_addc_co_u32_e32 v43, vcc, v43, v1, vcc
; %bb.49:
	s_or_b64 exec, exec, s[8:9]
	v_cmp_eq_u32_e32 vcc, 63, v0
	s_and_saveexec_b64 s[2:3], vcc
	s_cbranch_execz .LBB19_51
; %bb.50:
	v_mov_b32_e32 v1, 0
	ds_write_b64 v1, v[42:43]
.LBB19_51:
	s_or_b64 exec, exec, s[2:3]
	v_add_u32_e32 v1, -1, v56
	v_and_b32_e32 v44, 64, v56
	v_cmp_lt_i32_e32 vcc, v1, v44
	v_cndmask_b32_e32 v1, v1, v56, vcc
	v_lshlrev_b32_e32 v44, 2, v1
	ds_bpermute_b32 v1, v44, v42
	ds_bpermute_b32 v61, v44, v43
	v_cmp_gt_u32_e32 vcc, 64, v0
	s_waitcnt lgkmcnt(0)
	; wave barrier
	s_waitcnt lgkmcnt(0)
	s_and_saveexec_b64 s[10:11], vcc
	s_cbranch_execz .LBB19_70
; %bb.52:
	v_mov_b32_e32 v45, 0
	ds_read_b64 v[42:43], v45
	s_and_saveexec_b64 s[2:3], s[0:1]
	s_cbranch_execz .LBB19_54
; %bb.53:
	s_add_i32 s8, s6, 64
	s_mov_b32 s9, 0
	s_lshl_b64 s[8:9], s[8:9], 4
	s_add_u32 s8, s22, s8
	s_addc_u32 s9, s23, s9
	v_mov_b32_e32 v44, 1
	v_pk_mov_b32 v[46:47], s[8:9], s[8:9] op_sel:[0,1]
	s_waitcnt lgkmcnt(0)
	;;#ASMSTART
	global_store_dwordx4 v[46:47], v[42:45] off	
s_waitcnt vmcnt(0)
	;;#ASMEND
.LBB19_54:
	s_or_b64 exec, exec, s[2:3]
	v_xad_u32 v52, v56, -1, s6
	v_add_u32_e32 v44, 64, v52
	v_lshlrev_b64 v[46:47], 4, v[44:45]
	v_mov_b32_e32 v44, s23
	v_add_co_u32_e32 v54, vcc, s22, v46
	v_addc_co_u32_e32 v55, vcc, v44, v47, vcc
	;;#ASMSTART
	global_load_dwordx4 v[46:49], v[54:55] off glc	
s_waitcnt vmcnt(0)
	;;#ASMEND
	v_cmp_eq_u16_sdwa s[8:9], v48, v45 src0_sel:BYTE_0 src1_sel:DWORD
	s_and_saveexec_b64 s[2:3], s[8:9]
	s_cbranch_execz .LBB19_58
; %bb.55:
	s_mov_b64 s[8:9], 0
	v_mov_b32_e32 v44, 0
.LBB19_56:                              ; =>This Inner Loop Header: Depth=1
	;;#ASMSTART
	global_load_dwordx4 v[46:49], v[54:55] off glc	
s_waitcnt vmcnt(0)
	;;#ASMEND
	v_cmp_ne_u16_sdwa s[26:27], v48, v44 src0_sel:BYTE_0 src1_sel:DWORD
	s_or_b64 s[8:9], s[26:27], s[8:9]
	s_andn2_b64 exec, exec, s[8:9]
	s_cbranch_execnz .LBB19_56
; %bb.57:
	s_or_b64 exec, exec, s[8:9]
.LBB19_58:
	s_or_b64 exec, exec, s[2:3]
	v_mov_b32_e32 v62, 2
	v_cmp_eq_u16_sdwa s[2:3], v48, v62 src0_sel:BYTE_0 src1_sel:DWORD
	v_lshlrev_b64 v[44:45], v56, -1
	v_and_b32_e32 v49, s3, v45
	v_or_b32_e32 v49, 0x80000000, v49
	v_and_b32_e32 v53, s2, v44
	v_ffbl_b32_e32 v49, v49
	v_and_b32_e32 v54, 63, v56
	v_add_u32_e32 v49, 32, v49
	v_ffbl_b32_e32 v53, v53
	v_cmp_ne_u32_e32 vcc, 63, v54
	v_min_u32_e32 v49, v53, v49
	v_addc_co_u32_e32 v53, vcc, 0, v56, vcc
	v_lshlrev_b32_e32 v63, 2, v53
	ds_bpermute_b32 v55, v63, v46
	ds_bpermute_b32 v57, v63, v47
	v_cmp_gt_u32_e64 s[2:3], 62, v54
	v_add_u32_e32 v64, 1, v56
	v_cmp_gt_u32_e64 s[8:9], 60, v54
	s_waitcnt lgkmcnt(1)
	v_add_co_u32_e32 v55, vcc, v46, v55
	v_addc_co_u32_e32 v65, vcc, 0, v47, vcc
	v_add_co_u32_e32 v66, vcc, 0, v55
	s_waitcnt lgkmcnt(0)
	v_addc_co_u32_e32 v57, vcc, v57, v65, vcc
	v_cndmask_b32_e64 v65, 0, 1, s[2:3]
	v_cmp_le_u32_e32 vcc, v64, v49
	v_lshlrev_b32_e32 v65, 1, v65
	v_cndmask_b32_e32 v55, v46, v55, vcc
	v_add_lshl_u32 v65, v65, v56, 2
	v_cndmask_b32_e32 v57, v47, v57, vcc
	ds_bpermute_b32 v67, v65, v55
	ds_bpermute_b32 v69, v65, v57
	v_cndmask_b32_e32 v68, v46, v66, vcc
	v_add_u32_e32 v66, 2, v56
	v_mov_b32_e32 v53, 0
	s_waitcnt lgkmcnt(1)
	v_add_co_u32_e64 v67, s[2:3], v67, v68
	s_waitcnt lgkmcnt(0)
	v_addc_co_u32_e64 v69, s[2:3], v69, v57, s[2:3]
	v_cmp_le_u32_e64 s[2:3], v66, v49
	v_cndmask_b32_e64 v55, v55, v67, s[2:3]
	v_cndmask_b32_e64 v57, v57, v69, s[2:3]
	;; [unrolled: 1-line block ×4, first 2 shown]
	v_lshlrev_b32_e32 v67, 2, v67
	v_add_lshl_u32 v67, v67, v56, 2
	ds_bpermute_b32 v70, v67, v55
	ds_bpermute_b32 v71, v67, v57
	s_or_b64 s[8:9], vcc, s[2:3]
	v_add_u32_e32 v68, 4, v56
	v_cmp_gt_u32_e64 s[2:3], 56, v54
	s_waitcnt lgkmcnt(1)
	v_add_co_u32_e32 v70, vcc, v70, v69
	s_waitcnt lgkmcnt(0)
	v_addc_co_u32_e32 v71, vcc, v71, v57, vcc
	v_cmp_le_u32_e32 vcc, v68, v49
	v_cndmask_b32_e32 v57, v57, v71, vcc
	v_cndmask_b32_e32 v71, v69, v70, vcc
	v_cndmask_b32_e64 v69, 0, 1, s[2:3]
	v_lshlrev_b32_e32 v69, 3, v69
	v_cndmask_b32_e32 v55, v55, v70, vcc
	v_add_lshl_u32 v69, v69, v56, 2
	ds_bpermute_b32 v72, v69, v55
	ds_bpermute_b32 v73, v69, v57
	s_or_b64 s[8:9], vcc, s[8:9]
	v_add_u32_e32 v70, 8, v56
	v_cmp_gt_u32_e64 s[2:3], 48, v54
	s_waitcnt lgkmcnt(1)
	v_add_co_u32_e32 v72, vcc, v72, v71
	s_waitcnt lgkmcnt(0)
	v_addc_co_u32_e32 v73, vcc, v73, v57, vcc
	v_cmp_le_u32_e32 vcc, v70, v49
	v_cndmask_b32_e32 v75, v71, v72, vcc
	v_cndmask_b32_e64 v71, 0, 1, s[2:3]
	v_lshlrev_b32_e32 v71, 4, v71
	v_cndmask_b32_e32 v55, v55, v72, vcc
	v_add_lshl_u32 v71, v71, v56, 2
	v_cndmask_b32_e32 v57, v57, v73, vcc
	ds_bpermute_b32 v73, v71, v55
	ds_bpermute_b32 v74, v71, v57
	s_or_b64 s[2:3], vcc, s[8:9]
	v_add_u32_e32 v72, 16, v56
	s_waitcnt lgkmcnt(1)
	v_add_co_u32_e32 v76, vcc, v73, v75
	s_waitcnt lgkmcnt(0)
	v_addc_co_u32_e32 v74, vcc, v74, v57, vcc
	v_cmp_le_u32_e32 vcc, v72, v49
	s_or_b64 s[8:9], vcc, s[2:3]
	v_cmp_gt_u32_e64 s[2:3], 32, v54
	v_cndmask_b32_e64 v54, 0, 1, s[2:3]
	v_lshlrev_b32_e32 v54, 5, v54
	v_cndmask_b32_e32 v55, v55, v76, vcc
	v_add_lshl_u32 v73, v54, v56, 2
	v_cndmask_b32_e32 v54, v57, v74, vcc
	ds_bpermute_b32 v55, v73, v55
	ds_bpermute_b32 v57, v73, v54
	v_add_u32_e32 v74, 32, v56
	v_cndmask_b32_e32 v56, v75, v76, vcc
	v_cmp_le_u32_e32 vcc, v74, v49
	s_waitcnt lgkmcnt(1)
	v_cndmask_b32_e32 v55, 0, v55, vcc
	s_waitcnt lgkmcnt(0)
	v_cndmask_b32_e32 v49, 0, v57, vcc
	v_add_co_u32_e64 v55, s[2:3], v55, v56
	v_addc_co_u32_e64 v49, s[2:3], v49, v54, s[2:3]
	s_or_b64 vcc, vcc, s[8:9]
	v_cndmask_b32_e32 v47, v47, v49, vcc
	v_cndmask_b32_e32 v46, v46, v55, vcc
	s_branch .LBB19_60
.LBB19_59:                              ;   in Loop: Header=BB19_60 Depth=1
	s_or_b64 exec, exec, s[2:3]
	v_cmp_eq_u16_sdwa s[2:3], v48, v62 src0_sel:BYTE_0 src1_sel:DWORD
	v_and_b32_e32 v49, s3, v45
	v_or_b32_e32 v49, 0x80000000, v49
	ds_bpermute_b32 v57, v63, v46
	v_and_b32_e32 v56, s2, v44
	v_ffbl_b32_e32 v49, v49
	v_add_u32_e32 v49, 32, v49
	v_ffbl_b32_e32 v56, v56
	v_min_u32_e32 v49, v56, v49
	ds_bpermute_b32 v56, v63, v47
	s_waitcnt lgkmcnt(1)
	v_add_co_u32_e32 v57, vcc, v46, v57
	v_addc_co_u32_e32 v75, vcc, 0, v47, vcc
	v_add_co_u32_e32 v76, vcc, 0, v57
	s_waitcnt lgkmcnt(0)
	v_addc_co_u32_e32 v56, vcc, v56, v75, vcc
	v_cmp_le_u32_e32 vcc, v64, v49
	v_cndmask_b32_e32 v57, v46, v57, vcc
	ds_bpermute_b32 v75, v65, v57
	v_cndmask_b32_e32 v56, v47, v56, vcc
	ds_bpermute_b32 v77, v65, v56
	v_cndmask_b32_e32 v76, v46, v76, vcc
	v_subrev_u32_e32 v52, 64, v52
	s_waitcnt lgkmcnt(1)
	v_add_co_u32_e64 v75, s[2:3], v75, v76
	s_waitcnt lgkmcnt(0)
	v_addc_co_u32_e64 v77, s[2:3], v77, v56, s[2:3]
	v_cmp_le_u32_e64 s[2:3], v66, v49
	v_cndmask_b32_e64 v57, v57, v75, s[2:3]
	v_cndmask_b32_e64 v56, v56, v77, s[2:3]
	ds_bpermute_b32 v77, v67, v57
	v_cndmask_b32_e64 v75, v76, v75, s[2:3]
	ds_bpermute_b32 v76, v67, v56
	s_or_b64 s[2:3], vcc, s[2:3]
	s_waitcnt lgkmcnt(1)
	v_add_co_u32_e32 v77, vcc, v77, v75
	s_waitcnt lgkmcnt(0)
	v_addc_co_u32_e32 v76, vcc, v76, v56, vcc
	v_cmp_le_u32_e32 vcc, v68, v49
	v_cndmask_b32_e32 v57, v57, v77, vcc
	v_cndmask_b32_e32 v56, v56, v76, vcc
	ds_bpermute_b32 v76, v69, v57
	v_cndmask_b32_e32 v75, v75, v77, vcc
	ds_bpermute_b32 v77, v69, v56
	s_or_b64 s[2:3], vcc, s[2:3]
	s_waitcnt lgkmcnt(1)
	v_add_co_u32_e32 v76, vcc, v76, v75
	s_waitcnt lgkmcnt(0)
	v_addc_co_u32_e32 v77, vcc, v77, v56, vcc
	v_cmp_le_u32_e32 vcc, v70, v49
	v_cndmask_b32_e32 v57, v57, v76, vcc
	v_cndmask_b32_e32 v56, v56, v77, vcc
	ds_bpermute_b32 v77, v71, v57
	v_cndmask_b32_e32 v75, v75, v76, vcc
	ds_bpermute_b32 v76, v71, v56
	s_or_b64 s[2:3], vcc, s[2:3]
	s_waitcnt lgkmcnt(1)
	v_add_co_u32_e32 v77, vcc, v77, v75
	s_waitcnt lgkmcnt(0)
	v_addc_co_u32_e32 v76, vcc, v76, v56, vcc
	v_cmp_le_u32_e32 vcc, v72, v49
	v_cndmask_b32_e32 v57, v57, v77, vcc
	v_cndmask_b32_e32 v56, v56, v76, vcc
	ds_bpermute_b32 v57, v73, v57
	ds_bpermute_b32 v76, v73, v56
	s_or_b64 s[8:9], vcc, s[2:3]
	v_cndmask_b32_e32 v75, v75, v77, vcc
	v_cmp_le_u32_e32 vcc, v74, v49
	s_waitcnt lgkmcnt(1)
	v_cndmask_b32_e32 v57, 0, v57, vcc
	s_waitcnt lgkmcnt(0)
	v_cndmask_b32_e32 v49, 0, v76, vcc
	v_add_co_u32_e64 v57, s[2:3], v57, v75
	s_or_b64 vcc, vcc, s[8:9]
	v_addc_co_u32_e64 v49, s[2:3], v49, v56, s[2:3]
	v_cndmask_b32_e32 v46, v46, v57, vcc
	v_cndmask_b32_e32 v47, v47, v49, vcc
	v_add_co_u32_e32 v46, vcc, v46, v54
	v_addc_co_u32_e32 v47, vcc, v47, v55, vcc
.LBB19_60:                              ; =>This Loop Header: Depth=1
                                        ;     Child Loop BB19_63 Depth 2
	v_cmp_ne_u16_sdwa s[2:3], v48, v62 src0_sel:BYTE_0 src1_sel:DWORD
	v_cndmask_b32_e64 v48, 0, 1, s[2:3]
	;;#ASMSTART
	;;#ASMEND
	v_cmp_ne_u32_e32 vcc, 0, v48
	s_cmp_lg_u64 vcc, exec
	v_pk_mov_b32 v[54:55], v[46:47], v[46:47] op_sel:[0,1]
	s_cbranch_scc1 .LBB19_65
; %bb.61:                               ;   in Loop: Header=BB19_60 Depth=1
	v_lshlrev_b64 v[46:47], 4, v[52:53]
	v_mov_b32_e32 v48, s23
	v_add_co_u32_e32 v56, vcc, s22, v46
	v_addc_co_u32_e32 v57, vcc, v48, v47, vcc
	;;#ASMSTART
	global_load_dwordx4 v[46:49], v[56:57] off glc	
s_waitcnt vmcnt(0)
	;;#ASMEND
	v_cmp_eq_u16_sdwa s[8:9], v48, v53 src0_sel:BYTE_0 src1_sel:DWORD
	s_and_saveexec_b64 s[2:3], s[8:9]
	s_cbranch_execz .LBB19_59
; %bb.62:                               ;   in Loop: Header=BB19_60 Depth=1
	s_mov_b64 s[8:9], 0
.LBB19_63:                              ;   Parent Loop BB19_60 Depth=1
                                        ; =>  This Inner Loop Header: Depth=2
	;;#ASMSTART
	global_load_dwordx4 v[46:49], v[56:57] off glc	
s_waitcnt vmcnt(0)
	;;#ASMEND
	v_cmp_ne_u16_sdwa s[26:27], v48, v53 src0_sel:BYTE_0 src1_sel:DWORD
	s_or_b64 s[8:9], s[26:27], s[8:9]
	s_andn2_b64 exec, exec, s[8:9]
	s_cbranch_execnz .LBB19_63
; %bb.64:                               ;   in Loop: Header=BB19_60 Depth=1
	s_or_b64 exec, exec, s[8:9]
	s_branch .LBB19_59
.LBB19_65:                              ;   in Loop: Header=BB19_60 Depth=1
                                        ; implicit-def: $vgpr46_vgpr47
                                        ; implicit-def: $vgpr48
	s_cbranch_execz .LBB19_60
; %bb.66:
	s_and_saveexec_b64 s[2:3], s[0:1]
	s_cbranch_execz .LBB19_68
; %bb.67:
	s_add_i32 s0, s6, 64
	s_mov_b32 s1, 0
	s_lshl_b64 s[0:1], s[0:1], 4
	s_add_u32 s0, s22, s0
	v_add_co_u32_e32 v42, vcc, v54, v42
	s_addc_u32 s1, s23, s1
	v_addc_co_u32_e32 v43, vcc, v55, v43, vcc
	v_mov_b32_e32 v44, 2
	v_mov_b32_e32 v45, 0
	v_pk_mov_b32 v[46:47], s[0:1], s[0:1] op_sel:[0,1]
	;;#ASMSTART
	global_store_dwordx4 v[46:47], v[42:45] off	
s_waitcnt vmcnt(0)
	;;#ASMEND
.LBB19_68:
	s_or_b64 exec, exec, s[2:3]
	v_cmp_eq_u32_e32 vcc, 0, v0
	s_and_b64 exec, exec, vcc
	s_cbranch_execz .LBB19_70
; %bb.69:
	v_mov_b32_e32 v42, 0
	ds_write_b64 v42, v[54:55]
.LBB19_70:
	s_or_b64 exec, exec, s[10:11]
	v_mov_b32_e32 v42, 0
	s_waitcnt lgkmcnt(0)
	; wave barrier
	s_waitcnt lgkmcnt(0)
	ds_read_b64 v[42:43], v42
	v_cmp_ne_u32_e32 vcc, 0, v0
	v_cndmask_b32_e32 v1, 0, v1, vcc
	v_cndmask_b32_e32 v44, 0, v61, vcc
	s_waitcnt lgkmcnt(0)
	v_add_co_u32_e32 v42, vcc, v42, v1
	v_addc_co_u32_e32 v43, vcc, v43, v44, vcc
	s_load_dwordx4 s[8:11], s[4:5], 0x38
	s_branch .LBB19_81
.LBB19_71:
                                        ; implicit-def: $vgpr42_vgpr43
	s_load_dwordx4 s[8:11], s[4:5], 0x38
	s_cbranch_execz .LBB19_81
; %bb.72:
	s_load_dword s0, s[4:5], 0x48
	s_waitcnt lgkmcnt(0)
	s_bitcmp0_b32 s0, 0
	s_cbranch_scc1 .LBB19_74
; %bb.73:
	s_add_u32 s0, s12, -8
	s_addc_u32 s1, s13, -1
	s_load_dwordx2 s[2:3], s[8:9], 0x0
	s_load_dwordx2 s[6:7], s[0:1], 0x0
	s_waitcnt lgkmcnt(0)
	s_add_u32 s18, s6, s2
	s_addc_u32 s19, s7, s3
.LBB19_74:
	v_add_co_u32_e32 v1, vcc, v40, v38
	v_addc_co_u32_e32 v42, vcc, v41, v39, vcc
	v_add_co_u32_e32 v1, vcc, v1, v34
	v_addc_co_u32_e32 v42, vcc, v42, v35, vcc
	v_add_co_u32_e32 v1, vcc, v1, v36
	v_addc_co_u32_e32 v42, vcc, v42, v37, vcc
	v_add_co_u32_e32 v1, vcc, v1, v30
	v_addc_co_u32_e32 v42, vcc, v42, v31, vcc
	v_add_co_u32_e32 v1, vcc, v1, v32
	v_addc_co_u32_e32 v42, vcc, v42, v33, vcc
	v_add_co_u32_e32 v1, vcc, v1, v26
	v_addc_co_u32_e32 v42, vcc, v42, v27, vcc
	v_add_co_u32_e32 v1, vcc, v1, v28
	v_addc_co_u32_e32 v42, vcc, v42, v29, vcc
	v_add_co_u32_e32 v1, vcc, v1, v22
	v_addc_co_u32_e32 v42, vcc, v42, v23, vcc
	v_add_co_u32_e32 v1, vcc, v1, v24
	v_addc_co_u32_e32 v42, vcc, v42, v25, vcc
	v_add_co_u32_e32 v1, vcc, v1, v18
	v_addc_co_u32_e32 v42, vcc, v42, v19, vcc
	v_add_co_u32_e32 v1, vcc, v1, v20
	v_addc_co_u32_e32 v42, vcc, v42, v21, vcc
	v_add_co_u32_e32 v1, vcc, v1, v14
	v_addc_co_u32_e32 v42, vcc, v42, v15, vcc
	v_add_co_u32_e32 v1, vcc, v1, v16
	v_addc_co_u32_e32 v42, vcc, v42, v17, vcc
	v_add_co_u32_e32 v1, vcc, v1, v10
	v_addc_co_u32_e32 v42, vcc, v42, v11, vcc
	v_add_co_u32_e32 v1, vcc, v1, v12
	v_addc_co_u32_e32 v42, vcc, v42, v13, vcc
	v_add_co_u32_e32 v1, vcc, v1, v6
	v_addc_co_u32_e32 v42, vcc, v42, v7, vcc
	v_add_co_u32_e32 v1, vcc, v1, v8
	v_addc_co_u32_e32 v42, vcc, v42, v9, vcc
	v_add_co_u32_e32 v1, vcc, v1, v2
	v_addc_co_u32_e32 v42, vcc, v42, v3, vcc
	v_add_co_u32_e32 v1, vcc, v1, v4
	v_addc_co_u32_e32 v43, vcc, v42, v5, vcc
	v_add_co_u32_e32 v42, vcc, v1, v50
	v_addc_co_u32_e32 v43, vcc, v43, v51, vcc
	s_nop 0
	v_mov_b32_dpp v44, v42 row_shr:1 row_mask:0xf bank_mask:0xf
	v_add_co_u32_e32 v44, vcc, v42, v44
	v_addc_co_u32_e32 v47, vcc, 0, v43, vcc
	v_mbcnt_hi_u32_b32 v45, -1, v60
	v_mov_b32_dpp v46, v43 row_shr:1 row_mask:0xf bank_mask:0xf
	v_add_co_u32_e32 v48, vcc, 0, v44
	v_and_b32_e32 v1, 15, v45
	v_addc_co_u32_e32 v46, vcc, v46, v47, vcc
	v_cmp_eq_u32_e32 vcc, 0, v1
	v_cndmask_b32_e32 v44, v44, v42, vcc
	v_cndmask_b32_e32 v46, v46, v43, vcc
	v_cndmask_b32_e32 v47, v48, v42, vcc
	v_mov_b32_dpp v48, v44 row_shr:2 row_mask:0xf bank_mask:0xf
	v_mov_b32_dpp v49, v46 row_shr:2 row_mask:0xf bank_mask:0xf
	v_add_co_u32_e32 v48, vcc, v48, v47
	v_addc_co_u32_e32 v49, vcc, v49, v46, vcc
	v_cmp_lt_u32_e32 vcc, 1, v1
	v_cndmask_b32_e32 v44, v44, v48, vcc
	v_cndmask_b32_e32 v46, v46, v49, vcc
	v_cndmask_b32_e32 v47, v47, v48, vcc
	v_mov_b32_dpp v48, v44 row_shr:4 row_mask:0xf bank_mask:0xf
	v_mov_b32_dpp v49, v46 row_shr:4 row_mask:0xf bank_mask:0xf
	v_add_co_u32_e32 v48, vcc, v48, v47
	v_addc_co_u32_e32 v49, vcc, v49, v46, vcc
	v_cmp_lt_u32_e32 vcc, 3, v1
	;; [unrolled: 8-line block ×3, first 2 shown]
	v_cndmask_b32_e32 v50, v44, v48, vcc
	v_cndmask_b32_e32 v1, v46, v49, vcc
	;; [unrolled: 1-line block ×3, first 2 shown]
	v_mov_b32_dpp v46, v50 row_bcast:15 row_mask:0xf bank_mask:0xf
	v_mov_b32_dpp v47, v1 row_bcast:15 row_mask:0xf bank_mask:0xf
	v_and_b32_e32 v49, 16, v45
	v_add_co_u32_e32 v46, vcc, v46, v44
	v_addc_co_u32_e32 v48, vcc, v47, v1, vcc
	v_cmp_eq_u32_e64 s[0:1], 0, v49
	v_cndmask_b32_e64 v49, v48, v1, s[0:1]
	v_cndmask_b32_e64 v47, v46, v50, s[0:1]
	v_cmp_eq_u32_e32 vcc, 0, v45
	v_mov_b32_dpp v49, v49 row_bcast:31 row_mask:0xf bank_mask:0xf
	v_mov_b32_dpp v47, v47 row_bcast:31 row_mask:0xf bank_mask:0xf
	v_cmp_ne_u32_e64 s[2:3], 0, v45
	s_and_saveexec_b64 s[6:7], s[2:3]
; %bb.75:
	v_cndmask_b32_e64 v1, v48, v1, s[0:1]
	v_cndmask_b32_e64 v42, v46, v44, s[0:1]
	v_cmp_lt_u32_e64 s[0:1], 31, v45
	v_cndmask_b32_e64 v44, 0, v47, s[0:1]
	v_cndmask_b32_e64 v43, 0, v49, s[0:1]
	v_add_co_u32_e64 v42, s[0:1], v44, v42
	v_addc_co_u32_e64 v43, s[0:1], v43, v1, s[0:1]
; %bb.76:
	s_or_b64 exec, exec, s[6:7]
	v_cmp_eq_u32_e64 s[0:1], 63, v0
	s_and_saveexec_b64 s[2:3], s[0:1]
	s_cbranch_execz .LBB19_78
; %bb.77:
	v_mov_b32_e32 v1, 0
	ds_write_b64 v1, v[42:43]
.LBB19_78:
	s_or_b64 exec, exec, s[2:3]
	v_mov_b32_e32 v1, s19
	v_add_co_u32_e64 v42, s[0:1], s18, v42
	v_addc_co_u32_e64 v1, s[0:1], v43, v1, s[0:1]
	v_add_u32_e32 v43, -1, v45
	v_and_b32_e32 v44, 64, v45
	v_cmp_lt_i32_e64 s[0:1], v43, v44
	v_cndmask_b32_e64 v43, v43, v45, s[0:1]
	v_lshlrev_b32_e32 v43, 2, v43
	ds_bpermute_b32 v1, v43, v1
	ds_bpermute_b32 v42, v43, v42
	v_cmp_eq_u32_e64 s[0:1], 0, v0
	v_mov_b32_e32 v43, s19
	s_or_b64 vcc, s[0:1], vcc
	s_waitcnt lgkmcnt(1)
	v_cndmask_b32_e32 v43, v1, v43, vcc
	v_mov_b32_e32 v1, s18
	s_waitcnt lgkmcnt(0)
	v_cndmask_b32_e32 v42, v42, v1, vcc
	s_waitcnt lgkmcnt(0)
	; wave barrier
	s_and_saveexec_b64 s[2:3], s[0:1]
	s_cbranch_execz .LBB19_80
; %bb.79:
	v_mov_b32_e32 v45, 0
	ds_read_b64 v[42:43], v45
	s_add_u32 s0, s22, 0x400
	v_mov_b32_e32 v1, s19
	s_addc_u32 s1, s23, 0
	v_mov_b32_e32 v44, 2
	s_waitcnt lgkmcnt(0)
	v_add_co_u32_e32 v42, vcc, s18, v42
	v_addc_co_u32_e32 v43, vcc, v43, v1, vcc
	v_pk_mov_b32 v[46:47], s[0:1], s[0:1] op_sel:[0,1]
	;;#ASMSTART
	global_store_dwordx4 v[46:47], v[42:45] off	
s_waitcnt vmcnt(0)
	;;#ASMEND
	v_pk_mov_b32 v[42:43], s[18:19], s[18:19] op_sel:[0,1]
.LBB19_80:
	s_or_b64 exec, exec, s[2:3]
.LBB19_81:
	v_add_co_u32_e32 v44, vcc, v42, v38
	v_addc_co_u32_e32 v45, vcc, v43, v39, vcc
	v_add_co_u32_e32 v38, vcc, v44, v40
	v_addc_co_u32_e32 v39, vcc, v45, v41, vcc
	;; [unrolled: 2-line block ×20, first 2 shown]
	s_add_u32 s0, s14, s20
	s_addc_u32 s1, s15, s21
	s_mov_b64 s[2:3], -1
	s_and_b64 vcc, exec, s[16:17]
	s_waitcnt lgkmcnt(0)
	; wave barrier
	s_waitcnt lgkmcnt(0)
	s_cbranch_vccz .LBB19_83
; %bb.82:
	v_mul_u32_u24_e32 v1, 0xa8, v0
	s_movk_i32 s2, 0xa8
	ds_write2_b64 v1, v[42:43], v[44:45] offset1:1
	ds_write2_b64 v1, v[38:39], v[40:41] offset0:2 offset1:3
	ds_write2_b64 v1, v[34:35], v[36:37] offset0:4 offset1:5
	;; [unrolled: 1-line block ×9, first 2 shown]
	ds_write_b64 v1, v[4:5] offset:160
	v_mul_i32_i24_e32 v1, 0xffffff60, v0
	v_mad_u32_u24 v1, v0, s2, v1
	s_waitcnt lgkmcnt(0)
	; wave barrier
	s_waitcnt lgkmcnt(0)
	ds_read2st64_b64 v[46:49], v1 offset1:1
	ds_read2st64_b64 v[50:53], v1 offset0:2 offset1:3
	ds_read2st64_b64 v[54:57], v1 offset0:4 offset1:5
	;; [unrolled: 1-line block ×9, first 2 shown]
	ds_read_b64 v[8:9], v1 offset:10240
	v_mov_b32_e32 v1, s1
	v_add_co_u32_e32 v88, vcc, s0, v58
	v_addc_co_u32_e32 v1, vcc, 0, v1, vcc
	s_movk_i32 s2, 0x1000
	s_waitcnt lgkmcnt(10)
	global_store_dwordx2 v58, v[46:47], s[0:1]
	global_store_dwordx2 v58, v[48:49], s[0:1] offset:512
	s_waitcnt lgkmcnt(9)
	global_store_dwordx2 v58, v[50:51], s[0:1] offset:1024
	global_store_dwordx2 v58, v[52:53], s[0:1] offset:1536
	s_waitcnt lgkmcnt(8)
	global_store_dwordx2 v58, v[54:55], s[0:1] offset:2048
	;; [unrolled: 3-line block ×3, first 2 shown]
	global_store_dwordx2 v58, v[62:63], s[0:1] offset:3584
	v_add_co_u32_e32 v46, vcc, s2, v88
	v_addc_co_u32_e32 v47, vcc, 0, v1, vcc
	s_waitcnt lgkmcnt(6)
	global_store_dwordx2 v[46:47], v[64:65], off
	global_store_dwordx2 v[46:47], v[66:67], off offset:512
	s_waitcnt lgkmcnt(5)
	global_store_dwordx2 v[46:47], v[68:69], off offset:1024
	global_store_dwordx2 v[46:47], v[70:71], off offset:1536
	s_waitcnt lgkmcnt(4)
	global_store_dwordx2 v[46:47], v[72:73], off offset:2048
	;; [unrolled: 3-line block ×3, first 2 shown]
	global_store_dwordx2 v[46:47], v[78:79], off offset:3584
	v_add_co_u32_e32 v46, vcc, 0x2000, v88
	v_addc_co_u32_e32 v47, vcc, 0, v1, vcc
	s_waitcnt lgkmcnt(2)
	global_store_dwordx2 v[46:47], v[80:81], off
	global_store_dwordx2 v[46:47], v[82:83], off offset:512
	s_waitcnt lgkmcnt(1)
	global_store_dwordx2 v[46:47], v[84:85], off offset:1024
	global_store_dwordx2 v[46:47], v[86:87], off offset:1536
	s_waitcnt lgkmcnt(0)
	global_store_dwordx2 v[46:47], v[8:9], off offset:2048
	s_mov_b64 s[2:3], 0
.LBB19_83:
	s_andn2_b64 vcc, exec, s[2:3]
	s_cbranch_vccnz .LBB19_204
; %bb.84:
	v_mul_u32_u24_e32 v1, 0xa8, v0
	s_movk_i32 s2, 0xa8
	ds_write2_b64 v1, v[42:43], v[44:45] offset1:1
	ds_write2_b64 v1, v[38:39], v[40:41] offset0:2 offset1:3
	ds_write2_b64 v1, v[34:35], v[36:37] offset0:4 offset1:5
	;; [unrolled: 1-line block ×9, first 2 shown]
	ds_write_b64 v1, v[4:5] offset:160
	v_mul_i32_i24_e32 v2, 0xffffff60, v0
	v_mad_u32_u24 v42, v0, s2, v2
	s_waitcnt lgkmcnt(0)
	; wave barrier
	s_waitcnt lgkmcnt(0)
	ds_read2st64_b64 v[6:9], v42 offset1:1
	ds_read2st64_b64 v[10:13], v42 offset0:2 offset1:3
	ds_read2st64_b64 v[14:17], v42 offset0:4 offset1:5
	;; [unrolled: 1-line block ×9, first 2 shown]
	ds_read_b64 v[42:43], v42 offset:10240
	v_mov_b32_e32 v45, s1
	v_add_co_u32_e32 v44, vcc, s0, v58
	v_addc_co_u32_e32 v45, vcc, 0, v45, vcc
	v_mov_b32_e32 v1, 0
	v_cmp_gt_u32_e32 vcc, s24, v0
	s_and_saveexec_b64 s[0:1], vcc
	s_cbranch_execz .LBB19_86
; %bb.85:
	s_waitcnt lgkmcnt(10)
	global_store_dwordx2 v[44:45], v[6:7], off
.LBB19_86:
	s_or_b64 exec, exec, s[0:1]
	v_or_b32_e32 v46, 64, v0
	v_cmp_gt_u32_e32 vcc, s24, v46
	s_and_saveexec_b64 s[0:1], vcc
	s_cbranch_execz .LBB19_88
; %bb.87:
	s_waitcnt lgkmcnt(10)
	global_store_dwordx2 v[44:45], v[8:9], off offset:512
.LBB19_88:
	s_or_b64 exec, exec, s[0:1]
	v_or_b32_e32 v46, 0x80, v0
	v_cmp_gt_u32_e32 vcc, s24, v46
	s_and_saveexec_b64 s[0:1], vcc
	s_cbranch_execz .LBB19_90
; %bb.89:
	s_waitcnt lgkmcnt(9)
	global_store_dwordx2 v[44:45], v[10:11], off offset:1024
.LBB19_90:
	s_or_b64 exec, exec, s[0:1]
	v_or_b32_e32 v46, 0xc0, v0
	v_cmp_gt_u32_e32 vcc, s24, v46
	s_and_saveexec_b64 s[0:1], vcc
	s_cbranch_execz .LBB19_92
; %bb.91:
	s_waitcnt lgkmcnt(9)
	global_store_dwordx2 v[44:45], v[12:13], off offset:1536
.LBB19_92:
	s_or_b64 exec, exec, s[0:1]
	v_or_b32_e32 v46, 0x100, v0
	v_cmp_gt_u32_e32 vcc, s24, v46
	s_and_saveexec_b64 s[0:1], vcc
	s_cbranch_execz .LBB19_94
; %bb.93:
	s_waitcnt lgkmcnt(8)
	global_store_dwordx2 v[44:45], v[14:15], off offset:2048
.LBB19_94:
	s_or_b64 exec, exec, s[0:1]
	v_or_b32_e32 v46, 0x140, v0
	v_cmp_gt_u32_e32 vcc, s24, v46
	s_and_saveexec_b64 s[0:1], vcc
	s_cbranch_execz .LBB19_96
; %bb.95:
	s_waitcnt lgkmcnt(8)
	global_store_dwordx2 v[44:45], v[16:17], off offset:2560
.LBB19_96:
	s_or_b64 exec, exec, s[0:1]
	v_or_b32_e32 v46, 0x180, v0
	v_cmp_gt_u32_e32 vcc, s24, v46
	s_and_saveexec_b64 s[0:1], vcc
	s_cbranch_execz .LBB19_98
; %bb.97:
	s_waitcnt lgkmcnt(7)
	global_store_dwordx2 v[44:45], v[26:27], off offset:3072
.LBB19_98:
	s_or_b64 exec, exec, s[0:1]
	v_or_b32_e32 v46, 0x1c0, v0
	v_cmp_gt_u32_e32 vcc, s24, v46
	s_and_saveexec_b64 s[0:1], vcc
	s_cbranch_execz .LBB19_100
; %bb.99:
	s_waitcnt lgkmcnt(7)
	global_store_dwordx2 v[44:45], v[28:29], off offset:3584
.LBB19_100:
	s_or_b64 exec, exec, s[0:1]
	v_or_b32_e32 v46, 0x200, v0
	v_cmp_gt_u32_e32 vcc, s24, v46
	s_and_saveexec_b64 s[0:1], vcc
	s_cbranch_execz .LBB19_102
; %bb.101:
	v_add_co_u32_e32 v46, vcc, 0x1000, v44
	v_addc_co_u32_e32 v47, vcc, 0, v45, vcc
	s_waitcnt lgkmcnt(6)
	global_store_dwordx2 v[46:47], v[18:19], off
.LBB19_102:
	s_or_b64 exec, exec, s[0:1]
	v_or_b32_e32 v46, 0x240, v0
	v_cmp_gt_u32_e32 vcc, s24, v46
	s_and_saveexec_b64 s[0:1], vcc
	s_cbranch_execz .LBB19_104
; %bb.103:
	v_add_co_u32_e32 v46, vcc, 0x1000, v44
	v_addc_co_u32_e32 v47, vcc, 0, v45, vcc
	s_waitcnt lgkmcnt(6)
	global_store_dwordx2 v[46:47], v[20:21], off offset:512
.LBB19_104:
	s_or_b64 exec, exec, s[0:1]
	v_or_b32_e32 v46, 0x280, v0
	v_cmp_gt_u32_e32 vcc, s24, v46
	s_and_saveexec_b64 s[0:1], vcc
	s_cbranch_execz .LBB19_106
; %bb.105:
	v_add_co_u32_e32 v46, vcc, 0x1000, v44
	v_addc_co_u32_e32 v47, vcc, 0, v45, vcc
	s_waitcnt lgkmcnt(5)
	global_store_dwordx2 v[46:47], v[2:3], off offset:1024
.LBB19_106:
	;; [unrolled: 11-line block ×7, first 2 shown]
	s_or_b64 exec, exec, s[0:1]
	v_or_b32_e32 v46, 0x400, v0
	v_cmp_gt_u32_e32 vcc, s24, v46
	s_and_saveexec_b64 s[0:1], vcc
	s_cbranch_execz .LBB19_118
; %bb.117:
	v_add_co_u32_e32 v46, vcc, 0x2000, v44
	v_addc_co_u32_e32 v47, vcc, 0, v45, vcc
	s_waitcnt lgkmcnt(2)
	global_store_dwordx2 v[46:47], v[38:39], off
.LBB19_118:
	s_or_b64 exec, exec, s[0:1]
	v_or_b32_e32 v46, 0x440, v0
	v_cmp_gt_u32_e32 vcc, s24, v46
	s_and_saveexec_b64 s[0:1], vcc
	s_cbranch_execz .LBB19_120
; %bb.119:
	v_add_co_u32_e32 v46, vcc, 0x2000, v44
	v_addc_co_u32_e32 v47, vcc, 0, v45, vcc
	s_waitcnt lgkmcnt(2)
	global_store_dwordx2 v[46:47], v[40:41], off offset:512
.LBB19_120:
	s_or_b64 exec, exec, s[0:1]
	v_or_b32_e32 v46, 0x480, v0
	v_cmp_gt_u32_e32 vcc, s24, v46
	s_and_saveexec_b64 s[0:1], vcc
	s_cbranch_execz .LBB19_122
; %bb.121:
	v_add_co_u32_e32 v46, vcc, 0x2000, v44
	v_addc_co_u32_e32 v47, vcc, 0, v45, vcc
	s_waitcnt lgkmcnt(1)
	global_store_dwordx2 v[46:47], v[34:35], off offset:1024
.LBB19_122:
	;; [unrolled: 11-line block ×4, first 2 shown]
	s_or_b64 exec, exec, s[0:1]
	s_load_dword s0, s[4:5], 0x48
	s_waitcnt lgkmcnt(0)
	s_bfe_u32 s0, s0, 0x10008
	s_cmp_eq_u32 s0, 0
	s_cbranch_scc1 .LBB19_204
; %bb.127:
	s_add_u32 s0, s24, -1
	s_addc_u32 s1, s25, -1
	s_add_u32 s2, 0, 0x30c26c00
	s_addc_u32 s3, 0, 44
	s_add_i32 s3, s3, 0xc30c2e0
	s_mul_hi_u32 s7, s2, 0xffffffeb
	s_sub_i32 s7, s7, s2
	s_mul_i32 s8, s3, 0xffffffeb
	s_mul_i32 s4, s2, 0xffffffeb
	s_add_i32 s7, s7, s8
	s_mul_hi_u32 s5, s3, s4
	s_mul_i32 s6, s3, s4
	s_mul_i32 s9, s2, s7
	s_mul_hi_u32 s4, s2, s4
	s_mul_hi_u32 s8, s2, s7
	s_add_u32 s4, s4, s9
	s_addc_u32 s8, 0, s8
	s_add_u32 s4, s4, s6
	s_mul_hi_u32 s9, s3, s7
	s_addc_u32 s4, s8, s5
	s_addc_u32 s5, s9, 0
	s_mul_i32 s6, s3, s7
	s_add_u32 s4, s4, s6
	v_mov_b32_e32 v44, s4
	s_addc_u32 s5, 0, s5
	v_add_co_u32_e32 v44, vcc, s2, v44
	s_cmp_lg_u64 vcc, 0
	s_addc_u32 s2, s3, s5
	v_readfirstlane_b32 s5, v44
	s_mul_i32 s4, s0, s2
	s_mul_hi_u32 s6, s0, s5
	s_mul_hi_u32 s3, s0, s2
	s_add_u32 s4, s6, s4
	s_addc_u32 s3, 0, s3
	s_mul_hi_u32 s7, s1, s5
	s_mul_i32 s5, s1, s5
	s_add_u32 s4, s4, s5
	s_mul_hi_u32 s6, s1, s2
	s_addc_u32 s3, s3, s7
	s_addc_u32 s4, s6, 0
	s_mul_i32 s2, s1, s2
	s_add_u32 s2, s3, s2
	s_addc_u32 s3, 0, s4
	s_add_u32 s4, s2, 1
	s_addc_u32 s5, s3, 0
	s_add_u32 s6, s2, 2
	s_mul_i32 s8, s3, 21
	s_mul_hi_u32 s9, s2, 21
	s_addc_u32 s7, s3, 0
	s_add_i32 s9, s9, s8
	s_mul_i32 s8, s2, 21
	v_mov_b32_e32 v44, s8
	v_sub_co_u32_e32 v44, vcc, s0, v44
	s_cmp_lg_u64 vcc, 0
	s_subb_u32 s8, s1, s9
	v_subrev_co_u32_e32 v45, vcc, 21, v44
	s_cmp_lg_u64 vcc, 0
	s_subb_u32 s9, s8, 0
	v_readfirstlane_b32 s12, v45
	s_cmp_gt_u32 s12, 20
	s_cselect_b32 s12, -1, 0
	s_cmp_eq_u32 s9, 0
	s_cselect_b32 s9, s12, -1
	s_cmp_lg_u32 s9, 0
	s_cselect_b32 s4, s6, s4
	v_readfirstlane_b32 s6, v44
	s_cselect_b32 s5, s7, s5
	s_cmp_gt_u32 s6, 20
	s_cselect_b32 s6, -1, 0
	s_cmp_eq_u32 s8, 0
	s_cselect_b32 s6, s6, -1
	s_cmp_lg_u32 s6, 0
	s_cselect_b32 s3, s5, s3
	s_cselect_b32 s2, s4, s2
	v_cmp_eq_u64_e32 vcc, s[2:3], v[0:1]
	s_and_saveexec_b64 s[2:3], vcc
	s_cbranch_execz .LBB19_204
; %bb.128:
	v_mul_hi_u32_u24_e32 v1, 21, v0
	v_mov_b32_e32 v44, s1
	v_sub_co_u32_e32 v0, vcc, s0, v59
	v_subb_co_u32_e32 v1, vcc, v44, v1, vcc
	v_cmp_lt_i64_e32 vcc, 10, v[0:1]
	s_and_saveexec_b64 s[0:1], vcc
	s_xor_b64 s[0:1], exec, s[0:1]
	s_cbranch_execz .LBB19_166
; %bb.129:
	v_cmp_lt_i64_e32 vcc, 15, v[0:1]
	s_and_saveexec_b64 s[2:3], vcc
	s_xor_b64 s[2:3], exec, s[2:3]
	s_cbranch_execz .LBB19_147
; %bb.130:
	;; [unrolled: 5-line block ×5, first 2 shown]
	v_mov_b32_e32 v0, 0
	global_store_dwordx2 v0, v[42:43], s[10:11]
                                        ; implicit-def: $vgpr34_vgpr35_vgpr36_vgpr37
.LBB19_134:
	s_andn2_saveexec_b64 s[8:9], s[8:9]
	s_cbranch_execz .LBB19_136
; %bb.135:
	v_mov_b32_e32 v0, 0
	global_store_dwordx2 v0, v[36:37], s[10:11]
.LBB19_136:
	s_or_b64 exec, exec, s[8:9]
                                        ; implicit-def: $vgpr34_vgpr35_vgpr36_vgpr37
.LBB19_137:
	s_andn2_saveexec_b64 s[6:7], s[6:7]
	s_cbranch_execz .LBB19_139
; %bb.138:
	v_mov_b32_e32 v0, 0
	global_store_dwordx2 v0, v[34:35], s[10:11]
.LBB19_139:
	s_or_b64 exec, exec, s[6:7]
                                        ; implicit-def: $vgpr38_vgpr39_vgpr40_vgpr41
                                        ; implicit-def: $vgpr0_vgpr1
.LBB19_140:
	s_andn2_saveexec_b64 s[4:5], s[4:5]
	s_cbranch_execz .LBB19_146
; %bb.141:
	v_cmp_lt_i64_e32 vcc, 16, v[0:1]
	s_and_saveexec_b64 s[6:7], vcc
	s_xor_b64 s[6:7], exec, s[6:7]
	s_cbranch_execz .LBB19_143
; %bb.142:
	v_mov_b32_e32 v0, 0
	global_store_dwordx2 v0, v[40:41], s[10:11]
                                        ; implicit-def: $vgpr38_vgpr39_vgpr40_vgpr41
.LBB19_143:
	s_andn2_saveexec_b64 s[6:7], s[6:7]
	s_cbranch_execz .LBB19_145
; %bb.144:
	v_mov_b32_e32 v0, 0
	global_store_dwordx2 v0, v[38:39], s[10:11]
.LBB19_145:
	s_or_b64 exec, exec, s[6:7]
.LBB19_146:
	s_or_b64 exec, exec, s[4:5]
                                        ; implicit-def: $vgpr0_vgpr1
                                        ; implicit-def: $vgpr2_vgpr3_vgpr4_vgpr5
                                        ; implicit-def: $vgpr22_vgpr23_vgpr24_vgpr25
                                        ; implicit-def: $vgpr30_vgpr31_vgpr32_vgpr33
.LBB19_147:
	s_andn2_saveexec_b64 s[2:3], s[2:3]
	s_cbranch_execz .LBB19_165
; %bb.148:
	v_cmp_lt_i64_e32 vcc, 12, v[0:1]
	s_and_saveexec_b64 s[4:5], vcc
	s_xor_b64 s[4:5], exec, s[4:5]
	s_cbranch_execz .LBB19_158
; %bb.149:
	v_cmp_lt_i64_e32 vcc, 13, v[0:1]
	s_and_saveexec_b64 s[6:7], vcc
	s_xor_b64 s[6:7], exec, s[6:7]
	;; [unrolled: 5-line block ×3, first 2 shown]
	s_cbranch_execz .LBB19_152
; %bb.151:
	v_mov_b32_e32 v0, 0
	global_store_dwordx2 v0, v[32:33], s[10:11]
                                        ; implicit-def: $vgpr30_vgpr31_vgpr32_vgpr33
.LBB19_152:
	s_andn2_saveexec_b64 s[8:9], s[8:9]
	s_cbranch_execz .LBB19_154
; %bb.153:
	v_mov_b32_e32 v0, 0
	global_store_dwordx2 v0, v[30:31], s[10:11]
.LBB19_154:
	s_or_b64 exec, exec, s[8:9]
                                        ; implicit-def: $vgpr22_vgpr23_vgpr24_vgpr25
.LBB19_155:
	s_andn2_saveexec_b64 s[6:7], s[6:7]
	s_cbranch_execz .LBB19_157
; %bb.156:
	v_mov_b32_e32 v0, 0
	global_store_dwordx2 v0, v[24:25], s[10:11]
.LBB19_157:
	s_or_b64 exec, exec, s[6:7]
                                        ; implicit-def: $vgpr2_vgpr3_vgpr4_vgpr5
                                        ; implicit-def: $vgpr0_vgpr1
                                        ; implicit-def: $vgpr22_vgpr23_vgpr24_vgpr25
.LBB19_158:
	s_andn2_saveexec_b64 s[4:5], s[4:5]
	s_cbranch_execz .LBB19_164
; %bb.159:
	v_cmp_lt_i64_e32 vcc, 11, v[0:1]
	s_and_saveexec_b64 s[6:7], vcc
	s_xor_b64 s[6:7], exec, s[6:7]
	s_cbranch_execz .LBB19_161
; %bb.160:
	v_mov_b32_e32 v0, 0
	global_store_dwordx2 v0, v[22:23], s[10:11]
                                        ; implicit-def: $vgpr2_vgpr3_vgpr4_vgpr5
.LBB19_161:
	s_andn2_saveexec_b64 s[6:7], s[6:7]
	s_cbranch_execz .LBB19_163
; %bb.162:
	v_mov_b32_e32 v0, 0
	global_store_dwordx2 v0, v[4:5], s[10:11]
.LBB19_163:
	s_or_b64 exec, exec, s[6:7]
.LBB19_164:
	s_or_b64 exec, exec, s[4:5]
.LBB19_165:
	s_or_b64 exec, exec, s[2:3]
                                        ; implicit-def: $vgpr0_vgpr1
                                        ; implicit-def: $vgpr26_vgpr27_vgpr28_vgpr29
                                        ; implicit-def: $vgpr10_vgpr11_vgpr12_vgpr13
                                        ; implicit-def: $vgpr6_vgpr7_vgpr8_vgpr9
                                        ; implicit-def: $vgpr18_vgpr19_vgpr20_vgpr21
                                        ; implicit-def: $vgpr14_vgpr15_vgpr16_vgpr17
                                        ; implicit-def: $vgpr2_vgpr3_vgpr4_vgpr5
.LBB19_166:
	s_andn2_saveexec_b64 s[0:1], s[0:1]
	s_cbranch_execz .LBB19_204
; %bb.167:
	v_cmp_lt_i64_e32 vcc, 5, v[0:1]
	s_and_saveexec_b64 s[0:1], vcc
	s_xor_b64 s[0:1], exec, s[0:1]
	s_cbranch_execz .LBB19_185
; %bb.168:
	v_cmp_lt_i64_e32 vcc, 7, v[0:1]
	s_and_saveexec_b64 s[2:3], vcc
	s_xor_b64 s[2:3], exec, s[2:3]
	;; [unrolled: 5-line block ×4, first 2 shown]
	s_cbranch_execz .LBB19_172
; %bb.171:
	v_mov_b32_e32 v0, 0
	global_store_dwordx2 v0, v[2:3], s[10:11]
                                        ; implicit-def: $vgpr18_vgpr19_vgpr20_vgpr21
.LBB19_172:
	s_andn2_saveexec_b64 s[6:7], s[6:7]
	s_cbranch_execz .LBB19_174
; %bb.173:
	v_mov_b32_e32 v0, 0
	global_store_dwordx2 v0, v[20:21], s[10:11]
.LBB19_174:
	s_or_b64 exec, exec, s[6:7]
                                        ; implicit-def: $vgpr18_vgpr19_vgpr20_vgpr21
.LBB19_175:
	s_andn2_saveexec_b64 s[4:5], s[4:5]
	s_cbranch_execz .LBB19_177
; %bb.176:
	v_mov_b32_e32 v0, 0
	global_store_dwordx2 v0, v[18:19], s[10:11]
.LBB19_177:
	s_or_b64 exec, exec, s[4:5]
                                        ; implicit-def: $vgpr26_vgpr27_vgpr28_vgpr29
                                        ; implicit-def: $vgpr0_vgpr1
.LBB19_178:
	s_andn2_saveexec_b64 s[2:3], s[2:3]
	s_cbranch_execz .LBB19_184
; %bb.179:
	v_cmp_lt_i64_e32 vcc, 6, v[0:1]
	s_and_saveexec_b64 s[4:5], vcc
	s_xor_b64 s[4:5], exec, s[4:5]
	s_cbranch_execz .LBB19_181
; %bb.180:
	v_mov_b32_e32 v0, 0
	global_store_dwordx2 v0, v[28:29], s[10:11]
                                        ; implicit-def: $vgpr26_vgpr27_vgpr28_vgpr29
.LBB19_181:
	s_andn2_saveexec_b64 s[4:5], s[4:5]
	s_cbranch_execz .LBB19_183
; %bb.182:
	v_mov_b32_e32 v0, 0
	global_store_dwordx2 v0, v[26:27], s[10:11]
.LBB19_183:
	s_or_b64 exec, exec, s[4:5]
.LBB19_184:
	s_or_b64 exec, exec, s[2:3]
                                        ; implicit-def: $vgpr0_vgpr1
                                        ; implicit-def: $vgpr10_vgpr11_vgpr12_vgpr13
                                        ; implicit-def: $vgpr6_vgpr7_vgpr8_vgpr9
                                        ; implicit-def: $vgpr14_vgpr15_vgpr16_vgpr17
.LBB19_185:
	s_andn2_saveexec_b64 s[0:1], s[0:1]
	s_cbranch_execz .LBB19_204
; %bb.186:
	v_cmp_lt_i64_e32 vcc, 2, v[0:1]
	s_and_saveexec_b64 s[0:1], vcc
	s_xor_b64 s[0:1], exec, s[0:1]
	s_cbranch_execz .LBB19_196
; %bb.187:
	v_cmp_lt_i64_e32 vcc, 3, v[0:1]
	s_and_saveexec_b64 s[2:3], vcc
	s_xor_b64 s[2:3], exec, s[2:3]
	;; [unrolled: 5-line block ×3, first 2 shown]
	s_cbranch_execz .LBB19_190
; %bb.189:
	v_mov_b32_e32 v0, 0
	global_store_dwordx2 v0, v[16:17], s[10:11]
                                        ; implicit-def: $vgpr14_vgpr15_vgpr16_vgpr17
.LBB19_190:
	s_andn2_saveexec_b64 s[4:5], s[4:5]
	s_cbranch_execz .LBB19_192
; %bb.191:
	v_mov_b32_e32 v0, 0
	global_store_dwordx2 v0, v[14:15], s[10:11]
.LBB19_192:
	s_or_b64 exec, exec, s[4:5]
                                        ; implicit-def: $vgpr10_vgpr11_vgpr12_vgpr13
.LBB19_193:
	s_andn2_saveexec_b64 s[2:3], s[2:3]
	s_cbranch_execz .LBB19_195
; %bb.194:
	v_mov_b32_e32 v0, 0
	global_store_dwordx2 v0, v[12:13], s[10:11]
.LBB19_195:
	s_or_b64 exec, exec, s[2:3]
                                        ; implicit-def: $vgpr0_vgpr1
                                        ; implicit-def: $vgpr10_vgpr11_vgpr12_vgpr13
                                        ; implicit-def: $vgpr6_vgpr7_vgpr8_vgpr9
.LBB19_196:
	s_andn2_saveexec_b64 s[0:1], s[0:1]
	s_cbranch_execz .LBB19_204
; %bb.197:
	v_cmp_lt_i64_e32 vcc, 1, v[0:1]
	s_and_saveexec_b64 s[0:1], vcc
	s_xor_b64 s[0:1], exec, s[0:1]
	s_cbranch_execz .LBB19_199
; %bb.198:
	v_mov_b32_e32 v0, 0
	global_store_dwordx2 v0, v[10:11], s[10:11]
                                        ; implicit-def: $vgpr6_vgpr7_vgpr8_vgpr9
                                        ; implicit-def: $vgpr0_vgpr1
.LBB19_199:
	s_andn2_saveexec_b64 s[0:1], s[0:1]
	s_cbranch_execz .LBB19_204
; %bb.200:
	v_cmp_ne_u64_e32 vcc, 1, v[0:1]
	s_and_saveexec_b64 s[0:1], vcc
	s_xor_b64 s[0:1], exec, s[0:1]
	s_cbranch_execz .LBB19_202
; %bb.201:
	v_mov_b32_e32 v0, 0
	global_store_dwordx2 v0, v[6:7], s[10:11]
                                        ; implicit-def: $vgpr6_vgpr7_vgpr8_vgpr9
.LBB19_202:
	s_andn2_saveexec_b64 s[0:1], s[0:1]
	s_cbranch_execz .LBB19_204
; %bb.203:
	v_mov_b32_e32 v0, 0
	global_store_dwordx2 v0, v[8:9], s[10:11]
.LBB19_204:
	s_endpgm
	.section	.rodata,"a",@progbits
	.p2align	6, 0x0
	.amdhsa_kernel _ZN7rocprim17ROCPRIM_304000_NS6detail20lookback_scan_kernelILNS1_25lookback_scan_determinismE0ELb1ENS1_19wrapped_scan_configINS0_14default_configElEEPKlPlN2at4cuda3cub12_GLOBAL__N_15SumOpIlEEllNS1_19lookback_scan_stateIlLb0ELb1EEEEEvT2_T3_mT5_T4_T7_jPT6_SO_bb
		.amdhsa_group_segment_fixed_size 10752
		.amdhsa_private_segment_fixed_size 0
		.amdhsa_kernarg_size 76
		.amdhsa_user_sgpr_count 6
		.amdhsa_user_sgpr_private_segment_buffer 1
		.amdhsa_user_sgpr_dispatch_ptr 0
		.amdhsa_user_sgpr_queue_ptr 0
		.amdhsa_user_sgpr_kernarg_segment_ptr 1
		.amdhsa_user_sgpr_dispatch_id 0
		.amdhsa_user_sgpr_flat_scratch_init 0
		.amdhsa_user_sgpr_kernarg_preload_length 0
		.amdhsa_user_sgpr_kernarg_preload_offset 0
		.amdhsa_user_sgpr_private_segment_size 0
		.amdhsa_uses_dynamic_stack 0
		.amdhsa_system_sgpr_private_segment_wavefront_offset 0
		.amdhsa_system_sgpr_workgroup_id_x 1
		.amdhsa_system_sgpr_workgroup_id_y 0
		.amdhsa_system_sgpr_workgroup_id_z 0
		.amdhsa_system_sgpr_workgroup_info 0
		.amdhsa_system_vgpr_workitem_id 0
		.amdhsa_next_free_vgpr 89
		.amdhsa_next_free_sgpr 28
		.amdhsa_accum_offset 92
		.amdhsa_reserve_vcc 1
		.amdhsa_reserve_flat_scratch 0
		.amdhsa_float_round_mode_32 0
		.amdhsa_float_round_mode_16_64 0
		.amdhsa_float_denorm_mode_32 3
		.amdhsa_float_denorm_mode_16_64 3
		.amdhsa_dx10_clamp 1
		.amdhsa_ieee_mode 1
		.amdhsa_fp16_overflow 0
		.amdhsa_tg_split 0
		.amdhsa_exception_fp_ieee_invalid_op 0
		.amdhsa_exception_fp_denorm_src 0
		.amdhsa_exception_fp_ieee_div_zero 0
		.amdhsa_exception_fp_ieee_overflow 0
		.amdhsa_exception_fp_ieee_underflow 0
		.amdhsa_exception_fp_ieee_inexact 0
		.amdhsa_exception_int_div_zero 0
	.end_amdhsa_kernel
	.section	.text._ZN7rocprim17ROCPRIM_304000_NS6detail20lookback_scan_kernelILNS1_25lookback_scan_determinismE0ELb1ENS1_19wrapped_scan_configINS0_14default_configElEEPKlPlN2at4cuda3cub12_GLOBAL__N_15SumOpIlEEllNS1_19lookback_scan_stateIlLb0ELb1EEEEEvT2_T3_mT5_T4_T7_jPT6_SO_bb,"axG",@progbits,_ZN7rocprim17ROCPRIM_304000_NS6detail20lookback_scan_kernelILNS1_25lookback_scan_determinismE0ELb1ENS1_19wrapped_scan_configINS0_14default_configElEEPKlPlN2at4cuda3cub12_GLOBAL__N_15SumOpIlEEllNS1_19lookback_scan_stateIlLb0ELb1EEEEEvT2_T3_mT5_T4_T7_jPT6_SO_bb,comdat
.Lfunc_end19:
	.size	_ZN7rocprim17ROCPRIM_304000_NS6detail20lookback_scan_kernelILNS1_25lookback_scan_determinismE0ELb1ENS1_19wrapped_scan_configINS0_14default_configElEEPKlPlN2at4cuda3cub12_GLOBAL__N_15SumOpIlEEllNS1_19lookback_scan_stateIlLb0ELb1EEEEEvT2_T3_mT5_T4_T7_jPT6_SO_bb, .Lfunc_end19-_ZN7rocprim17ROCPRIM_304000_NS6detail20lookback_scan_kernelILNS1_25lookback_scan_determinismE0ELb1ENS1_19wrapped_scan_configINS0_14default_configElEEPKlPlN2at4cuda3cub12_GLOBAL__N_15SumOpIlEEllNS1_19lookback_scan_stateIlLb0ELb1EEEEEvT2_T3_mT5_T4_T7_jPT6_SO_bb
                                        ; -- End function
	.section	.AMDGPU.csdata,"",@progbits
; Kernel info:
; codeLenInByte = 7440
; NumSgprs: 32
; NumVgprs: 89
; NumAgprs: 0
; TotalNumVgprs: 89
; ScratchSize: 0
; MemoryBound: 1
; FloatMode: 240
; IeeeMode: 1
; LDSByteSize: 10752 bytes/workgroup (compile time only)
; SGPRBlocks: 3
; VGPRBlocks: 11
; NumSGPRsForWavesPerEU: 32
; NumVGPRsForWavesPerEU: 89
; AccumOffset: 92
; Occupancy: 2
; WaveLimiterHint : 1
; COMPUTE_PGM_RSRC2:SCRATCH_EN: 0
; COMPUTE_PGM_RSRC2:USER_SGPR: 6
; COMPUTE_PGM_RSRC2:TRAP_HANDLER: 0
; COMPUTE_PGM_RSRC2:TGID_X_EN: 1
; COMPUTE_PGM_RSRC2:TGID_Y_EN: 0
; COMPUTE_PGM_RSRC2:TGID_Z_EN: 0
; COMPUTE_PGM_RSRC2:TIDIG_COMP_CNT: 0
; COMPUTE_PGM_RSRC3_GFX90A:ACCUM_OFFSET: 22
; COMPUTE_PGM_RSRC3_GFX90A:TG_SPLIT: 0
	.section	.text._ZN7rocprim17ROCPRIM_304000_NS6detail18single_scan_kernelILb1ENS1_19wrapped_scan_configINS0_14default_configElEEPKlPlN2at4cuda3cub12_GLOBAL__N_15SumOpIlEEllEEvT1_mT4_T2_T3_,"axG",@progbits,_ZN7rocprim17ROCPRIM_304000_NS6detail18single_scan_kernelILb1ENS1_19wrapped_scan_configINS0_14default_configElEEPKlPlN2at4cuda3cub12_GLOBAL__N_15SumOpIlEEllEEvT1_mT4_T2_T3_,comdat
	.globl	_ZN7rocprim17ROCPRIM_304000_NS6detail18single_scan_kernelILb1ENS1_19wrapped_scan_configINS0_14default_configElEEPKlPlN2at4cuda3cub12_GLOBAL__N_15SumOpIlEEllEEvT1_mT4_T2_T3_ ; -- Begin function _ZN7rocprim17ROCPRIM_304000_NS6detail18single_scan_kernelILb1ENS1_19wrapped_scan_configINS0_14default_configElEEPKlPlN2at4cuda3cub12_GLOBAL__N_15SumOpIlEEllEEvT1_mT4_T2_T3_
	.p2align	8
	.type	_ZN7rocprim17ROCPRIM_304000_NS6detail18single_scan_kernelILb1ENS1_19wrapped_scan_configINS0_14default_configElEEPKlPlN2at4cuda3cub12_GLOBAL__N_15SumOpIlEEllEEvT1_mT4_T2_T3_,@function
_ZN7rocprim17ROCPRIM_304000_NS6detail18single_scan_kernelILb1ENS1_19wrapped_scan_configINS0_14default_configElEEPKlPlN2at4cuda3cub12_GLOBAL__N_15SumOpIlEEllEEvT1_mT4_T2_T3_: ; @_ZN7rocprim17ROCPRIM_304000_NS6detail18single_scan_kernelILb1ENS1_19wrapped_scan_configINS0_14default_configElEEPKlPlN2at4cuda3cub12_GLOBAL__N_15SumOpIlEEllEEvT1_mT4_T2_T3_
; %bb.0:
	s_load_dwordx8 s[44:51], s[4:5], 0x0
	v_lshlrev_b32_e32 v46, 3, v0
	s_waitcnt lgkmcnt(0)
	s_load_dwordx2 s[52:53], s[44:45], 0x0
	v_mov_b32_e32 v1, s45
	v_add_co_u32_e32 v4, vcc, s44, v46
	v_addc_co_u32_e32 v5, vcc, 0, v1, vcc
	v_cmp_gt_u32_e64 s[0:1], s46, v0
	s_waitcnt lgkmcnt(0)
	v_pk_mov_b32 v[2:3], s[52:53], s[52:53] op_sel:[0,1]
	s_and_saveexec_b64 s[2:3], s[0:1]
	s_cbranch_execz .LBB20_2
; %bb.1:
	global_load_dwordx2 v[2:3], v[4:5], off
.LBB20_2:
	s_or_b64 exec, exec, s[2:3]
	v_or_b32_e32 v1, 64, v0
	v_cmp_gt_u32_e64 s[2:3], s46, v1
	v_pk_mov_b32 v[6:7], s[52:53], s[52:53] op_sel:[0,1]
	s_and_saveexec_b64 s[4:5], s[2:3]
	s_cbranch_execz .LBB20_4
; %bb.3:
	global_load_dwordx2 v[6:7], v[4:5], off offset:512
.LBB20_4:
	s_or_b64 exec, exec, s[4:5]
	v_or_b32_e32 v1, 0x80, v0
	v_cmp_gt_u32_e64 s[4:5], s46, v1
	v_pk_mov_b32 v[8:9], s[52:53], s[52:53] op_sel:[0,1]
	s_and_saveexec_b64 s[6:7], s[4:5]
	s_cbranch_execz .LBB20_6
; %bb.5:
	global_load_dwordx2 v[8:9], v[4:5], off offset:1024
.LBB20_6:
	;; [unrolled: 9-line block ×7, first 2 shown]
	s_or_b64 exec, exec, s[16:17]
	v_or_b32_e32 v1, 0x200, v0
	v_cmp_gt_u32_e64 s[16:17], s46, v1
	v_pk_mov_b32 v[20:21], s[52:53], s[52:53] op_sel:[0,1]
	s_and_saveexec_b64 s[18:19], s[16:17]
	s_cbranch_execz .LBB20_18
; %bb.17:
	v_add_co_u32_e32 v20, vcc, 0x1000, v4
	v_addc_co_u32_e32 v21, vcc, 0, v5, vcc
	global_load_dwordx2 v[20:21], v[20:21], off
.LBB20_18:
	s_or_b64 exec, exec, s[18:19]
	v_or_b32_e32 v1, 0x240, v0
	v_cmp_gt_u32_e64 s[18:19], s46, v1
	v_pk_mov_b32 v[22:23], s[52:53], s[52:53] op_sel:[0,1]
	s_and_saveexec_b64 s[20:21], s[18:19]
	s_cbranch_execz .LBB20_20
; %bb.19:
	v_add_co_u32_e32 v22, vcc, 0x1000, v4
	v_addc_co_u32_e32 v23, vcc, 0, v5, vcc
	global_load_dwordx2 v[22:23], v[22:23], off offset:512
.LBB20_20:
	s_or_b64 exec, exec, s[20:21]
	v_or_b32_e32 v1, 0x280, v0
	v_cmp_gt_u32_e64 s[20:21], s46, v1
	v_pk_mov_b32 v[24:25], s[52:53], s[52:53] op_sel:[0,1]
	s_and_saveexec_b64 s[22:23], s[20:21]
	s_cbranch_execz .LBB20_22
; %bb.21:
	v_add_co_u32_e32 v24, vcc, 0x1000, v4
	v_addc_co_u32_e32 v25, vcc, 0, v5, vcc
	global_load_dwordx2 v[24:25], v[24:25], off offset:1024
.LBB20_22:
	;; [unrolled: 11-line block ×7, first 2 shown]
	s_or_b64 exec, exec, s[34:35]
	v_or_b32_e32 v1, 0x400, v0
	v_cmp_gt_u32_e64 s[34:35], s46, v1
	v_pk_mov_b32 v[36:37], s[52:53], s[52:53] op_sel:[0,1]
	s_and_saveexec_b64 s[36:37], s[34:35]
	s_cbranch_execz .LBB20_34
; %bb.33:
	v_add_co_u32_e32 v36, vcc, 0x2000, v4
	v_addc_co_u32_e32 v37, vcc, 0, v5, vcc
	global_load_dwordx2 v[36:37], v[36:37], off
.LBB20_34:
	s_or_b64 exec, exec, s[36:37]
	v_or_b32_e32 v1, 0x440, v0
	v_cmp_gt_u32_e64 s[36:37], s46, v1
	v_pk_mov_b32 v[38:39], s[52:53], s[52:53] op_sel:[0,1]
	s_and_saveexec_b64 s[38:39], s[36:37]
	s_cbranch_execz .LBB20_36
; %bb.35:
	v_add_co_u32_e32 v38, vcc, 0x2000, v4
	v_addc_co_u32_e32 v39, vcc, 0, v5, vcc
	global_load_dwordx2 v[38:39], v[38:39], off offset:512
.LBB20_36:
	s_or_b64 exec, exec, s[38:39]
	v_or_b32_e32 v1, 0x480, v0
	v_cmp_gt_u32_e64 s[38:39], s46, v1
	v_pk_mov_b32 v[40:41], s[52:53], s[52:53] op_sel:[0,1]
	s_and_saveexec_b64 s[40:41], s[38:39]
	s_cbranch_execz .LBB20_38
; %bb.37:
	v_add_co_u32_e32 v40, vcc, 0x2000, v4
	v_addc_co_u32_e32 v41, vcc, 0, v5, vcc
	global_load_dwordx2 v[40:41], v[40:41], off offset:1024
.LBB20_38:
	;; [unrolled: 11-line block ×4, first 2 shown]
	s_or_b64 exec, exec, s[44:45]
	s_movk_i32 s33, 0xa0
	v_mad_u32_u24 v1, v0, s33, v46
	s_waitcnt vmcnt(0)
	ds_write2st64_b64 v46, v[2:3], v[6:7] offset1:1
	ds_write2st64_b64 v46, v[8:9], v[10:11] offset0:2 offset1:3
	ds_write2st64_b64 v46, v[12:13], v[14:15] offset0:4 offset1:5
	ds_write2st64_b64 v46, v[16:17], v[18:19] offset0:6 offset1:7
	ds_write2st64_b64 v46, v[20:21], v[22:23] offset0:8 offset1:9
	ds_write2st64_b64 v46, v[24:25], v[26:27] offset0:10 offset1:11
	ds_write2st64_b64 v46, v[28:29], v[30:31] offset0:12 offset1:13
	ds_write2st64_b64 v46, v[32:33], v[34:35] offset0:14 offset1:15
	ds_write2st64_b64 v46, v[36:37], v[38:39] offset0:16 offset1:17
	ds_write2st64_b64 v46, v[40:41], v[42:43] offset0:18 offset1:19
	ds_write_b64 v46, v[44:45] offset:10240
	s_waitcnt lgkmcnt(0)
	; wave barrier
	s_waitcnt lgkmcnt(0)
	ds_read2_b64 v[2:5], v1 offset1:1
	ds_read2_b64 v[6:9], v1 offset0:2 offset1:3
	ds_read2_b64 v[10:13], v1 offset0:4 offset1:5
	;; [unrolled: 1-line block ×9, first 2 shown]
	ds_read_b64 v[42:43], v1 offset:160
	s_waitcnt lgkmcnt(10)
	v_add_co_u32_e32 v1, vcc, v4, v2
	v_addc_co_u32_e32 v44, vcc, v5, v3, vcc
	s_waitcnt lgkmcnt(9)
	v_add_co_u32_e32 v1, vcc, v1, v6
	v_addc_co_u32_e32 v44, vcc, v44, v7, vcc
	v_add_co_u32_e32 v1, vcc, v1, v8
	v_addc_co_u32_e32 v44, vcc, v44, v9, vcc
	s_waitcnt lgkmcnt(8)
	v_add_co_u32_e32 v1, vcc, v1, v10
	v_addc_co_u32_e32 v44, vcc, v44, v11, vcc
	;; [unrolled: 5-line block ×10, first 2 shown]
	s_nop 0
	v_mov_b32_dpp v44, v42 row_shr:1 row_mask:0xf bank_mask:0xf
	v_add_co_u32_e32 v44, vcc, v42, v44
	v_mbcnt_lo_u32_b32 v1, -1, 0
	v_addc_co_u32_e32 v48, vcc, 0, v43, vcc
	v_mbcnt_hi_u32_b32 v45, -1, v1
	v_mov_b32_dpp v47, v43 row_shr:1 row_mask:0xf bank_mask:0xf
	v_add_co_u32_e32 v49, vcc, 0, v44
	v_and_b32_e32 v1, 15, v45
	v_addc_co_u32_e32 v47, vcc, v47, v48, vcc
	v_cmp_eq_u32_e32 vcc, 0, v1
	v_cndmask_b32_e32 v44, v44, v42, vcc
	v_cndmask_b32_e32 v47, v47, v43, vcc
	v_cndmask_b32_e32 v48, v49, v42, vcc
	v_mov_b32_dpp v49, v44 row_shr:2 row_mask:0xf bank_mask:0xf
	v_mov_b32_dpp v50, v47 row_shr:2 row_mask:0xf bank_mask:0xf
	v_add_co_u32_e32 v49, vcc, v49, v48
	v_addc_co_u32_e32 v50, vcc, v50, v47, vcc
	v_cmp_lt_u32_e32 vcc, 1, v1
	v_cndmask_b32_e32 v44, v44, v49, vcc
	v_cndmask_b32_e32 v47, v47, v50, vcc
	v_cndmask_b32_e32 v48, v48, v49, vcc
	v_mov_b32_dpp v49, v44 row_shr:4 row_mask:0xf bank_mask:0xf
	v_mov_b32_dpp v50, v47 row_shr:4 row_mask:0xf bank_mask:0xf
	v_add_co_u32_e32 v49, vcc, v49, v48
	v_addc_co_u32_e32 v50, vcc, v50, v47, vcc
	v_cmp_lt_u32_e32 vcc, 3, v1
	;; [unrolled: 8-line block ×3, first 2 shown]
	v_cndmask_b32_e32 v51, v44, v49, vcc
	v_cndmask_b32_e32 v1, v47, v50, vcc
	;; [unrolled: 1-line block ×3, first 2 shown]
	v_mov_b32_dpp v47, v51 row_bcast:15 row_mask:0xf bank_mask:0xf
	v_mov_b32_dpp v48, v1 row_bcast:15 row_mask:0xf bank_mask:0xf
	v_and_b32_e32 v50, 16, v45
	v_add_co_u32_e32 v47, vcc, v47, v44
	v_addc_co_u32_e32 v49, vcc, v48, v1, vcc
	v_cmp_eq_u32_e64 s[44:45], 0, v50
	v_cndmask_b32_e64 v50, v49, v1, s[44:45]
	v_cndmask_b32_e64 v48, v47, v51, s[44:45]
	v_cmp_eq_u32_e32 vcc, 0, v45
	v_mov_b32_dpp v50, v50 row_bcast:31 row_mask:0xf bank_mask:0xf
	v_mov_b32_dpp v48, v48 row_bcast:31 row_mask:0xf bank_mask:0xf
	v_cmp_ne_u32_e64 s[46:47], 0, v45
	s_waitcnt lgkmcnt(0)
	; wave barrier
	s_and_saveexec_b64 s[52:53], s[46:47]
; %bb.43:
	v_cndmask_b32_e64 v1, v49, v1, s[44:45]
	v_cndmask_b32_e64 v42, v47, v44, s[44:45]
	v_cmp_lt_u32_e64 s[44:45], 31, v45
	v_cndmask_b32_e64 v44, 0, v48, s[44:45]
	v_cndmask_b32_e64 v43, 0, v50, s[44:45]
	v_add_co_u32_e64 v42, s[44:45], v44, v42
	v_addc_co_u32_e64 v43, s[44:45], v43, v1, s[44:45]
; %bb.44:
	s_or_b64 exec, exec, s[52:53]
	v_mul_u32_u24_e32 v1, 0xa0, v0
	v_cmp_eq_u32_e64 s[44:45], 63, v0
	s_and_saveexec_b64 s[46:47], s[44:45]
	s_cbranch_execz .LBB20_46
; %bb.45:
	v_mov_b32_e32 v44, 0
	ds_write_b64 v44, v[42:43]
.LBB20_46:
	s_or_b64 exec, exec, s[46:47]
	v_mov_b32_e32 v44, s49
	v_add_co_u32_e64 v42, s[44:45], s48, v42
	v_addc_co_u32_e64 v43, s[44:45], v43, v44, s[44:45]
	v_add_u32_e32 v44, -1, v45
	v_and_b32_e32 v47, 64, v45
	v_cmp_lt_i32_e64 s[44:45], v44, v47
	v_cndmask_b32_e64 v44, v44, v45, s[44:45]
	v_lshlrev_b32_e32 v44, 2, v44
	ds_bpermute_b32 v43, v44, v43
	ds_bpermute_b32 v42, v44, v42
	v_cmp_eq_u32_e64 s[44:45], 0, v0
	v_mov_b32_e32 v0, s49
	s_or_b64 vcc, s[44:45], vcc
	s_waitcnt lgkmcnt(1)
	v_cndmask_b32_e32 v43, v43, v0, vcc
	v_mov_b32_e32 v0, s48
	s_waitcnt lgkmcnt(0)
	v_cndmask_b32_e32 v42, v42, v0, vcc
	v_add_co_u32_e32 v2, vcc, v42, v2
	v_addc_co_u32_e32 v3, vcc, v43, v3, vcc
	v_add_co_u32_e32 v4, vcc, v2, v4
	v_addc_co_u32_e32 v5, vcc, v3, v5, vcc
	;; [unrolled: 2-line block ×19, first 2 shown]
	v_add_co_u32_e32 v40, vcc, v38, v40
	v_add_u32_e32 v0, v46, v1
	s_waitcnt lgkmcnt(0)
	; wave barrier
	v_addc_co_u32_e32 v41, vcc, v39, v41, vcc
	s_waitcnt lgkmcnt(0)
	; wave barrier
	ds_write2_b64 v0, v[42:43], v[2:3] offset1:1
	ds_write2_b64 v0, v[4:5], v[6:7] offset0:2 offset1:3
	ds_write2_b64 v0, v[8:9], v[10:11] offset0:4 offset1:5
	ds_write2_b64 v0, v[12:13], v[14:15] offset0:6 offset1:7
	ds_write2_b64 v0, v[16:17], v[18:19] offset0:8 offset1:9
	ds_write2_b64 v0, v[20:21], v[22:23] offset0:10 offset1:11
	ds_write2_b64 v0, v[24:25], v[26:27] offset0:12 offset1:13
	ds_write2_b64 v0, v[28:29], v[30:31] offset0:14 offset1:15
	ds_write2_b64 v0, v[32:33], v[34:35] offset0:16 offset1:17
	ds_write2_b64 v0, v[36:37], v[38:39] offset0:18 offset1:19
	ds_write_b64 v0, v[40:41] offset:160
	s_waitcnt lgkmcnt(0)
	; wave barrier
	s_waitcnt lgkmcnt(0)
	ds_read2st64_b64 v[36:39], v46 offset0:1 offset1:2
	ds_read2st64_b64 v[32:35], v46 offset0:3 offset1:4
	;; [unrolled: 1-line block ×10, first 2 shown]
	v_mov_b32_e32 v41, s51
	v_add_co_u32_e32 v40, vcc, s50, v46
	v_addc_co_u32_e32 v41, vcc, 0, v41, vcc
	s_and_saveexec_b64 s[44:45], s[0:1]
	s_cbranch_execnz .LBB20_68
; %bb.47:
	s_or_b64 exec, exec, s[44:45]
	s_and_saveexec_b64 s[0:1], s[2:3]
	s_cbranch_execnz .LBB20_69
.LBB20_48:
	s_or_b64 exec, exec, s[0:1]
	s_and_saveexec_b64 s[0:1], s[4:5]
	s_cbranch_execnz .LBB20_70
.LBB20_49:
	s_or_b64 exec, exec, s[0:1]
	s_and_saveexec_b64 s[0:1], s[6:7]
	s_cbranch_execnz .LBB20_71
.LBB20_50:
	s_or_b64 exec, exec, s[0:1]
	s_and_saveexec_b64 s[0:1], s[8:9]
	s_cbranch_execnz .LBB20_72
.LBB20_51:
	s_or_b64 exec, exec, s[0:1]
	s_and_saveexec_b64 s[0:1], s[10:11]
	s_cbranch_execnz .LBB20_73
.LBB20_52:
	s_or_b64 exec, exec, s[0:1]
	s_and_saveexec_b64 s[0:1], s[12:13]
	s_cbranch_execnz .LBB20_74
.LBB20_53:
	s_or_b64 exec, exec, s[0:1]
	s_and_saveexec_b64 s[0:1], s[14:15]
	s_cbranch_execnz .LBB20_75
.LBB20_54:
	s_or_b64 exec, exec, s[0:1]
	s_and_saveexec_b64 s[0:1], s[16:17]
	s_cbranch_execnz .LBB20_76
.LBB20_55:
	s_or_b64 exec, exec, s[0:1]
	s_and_saveexec_b64 s[0:1], s[18:19]
	s_cbranch_execnz .LBB20_77
.LBB20_56:
	s_or_b64 exec, exec, s[0:1]
	s_and_saveexec_b64 s[0:1], s[20:21]
	s_cbranch_execnz .LBB20_78
.LBB20_57:
	s_or_b64 exec, exec, s[0:1]
	s_and_saveexec_b64 s[0:1], s[22:23]
	s_cbranch_execnz .LBB20_79
.LBB20_58:
	s_or_b64 exec, exec, s[0:1]
	s_and_saveexec_b64 s[0:1], s[24:25]
	s_cbranch_execnz .LBB20_80
.LBB20_59:
	s_or_b64 exec, exec, s[0:1]
	s_and_saveexec_b64 s[0:1], s[26:27]
	s_cbranch_execnz .LBB20_81
.LBB20_60:
	s_or_b64 exec, exec, s[0:1]
	s_and_saveexec_b64 s[0:1], s[28:29]
	s_cbranch_execnz .LBB20_82
.LBB20_61:
	s_or_b64 exec, exec, s[0:1]
	s_and_saveexec_b64 s[0:1], s[30:31]
	s_cbranch_execnz .LBB20_83
.LBB20_62:
	s_or_b64 exec, exec, s[0:1]
	s_and_saveexec_b64 s[0:1], s[34:35]
	s_cbranch_execnz .LBB20_84
.LBB20_63:
	s_or_b64 exec, exec, s[0:1]
	s_and_saveexec_b64 s[0:1], s[36:37]
	s_cbranch_execnz .LBB20_85
.LBB20_64:
	s_or_b64 exec, exec, s[0:1]
	s_and_saveexec_b64 s[0:1], s[38:39]
	s_cbranch_execnz .LBB20_86
.LBB20_65:
	s_or_b64 exec, exec, s[0:1]
	s_and_saveexec_b64 s[0:1], s[40:41]
	s_cbranch_execnz .LBB20_87
.LBB20_66:
	s_or_b64 exec, exec, s[0:1]
	s_and_saveexec_b64 s[0:1], s[42:43]
	s_cbranch_execnz .LBB20_88
.LBB20_67:
	s_endpgm
.LBB20_68:
	ds_read_b64 v[42:43], v46
	s_waitcnt lgkmcnt(0)
	global_store_dwordx2 v[40:41], v[42:43], off
	s_or_b64 exec, exec, s[44:45]
	s_and_saveexec_b64 s[0:1], s[2:3]
	s_cbranch_execz .LBB20_48
.LBB20_69:
	s_waitcnt lgkmcnt(9)
	global_store_dwordx2 v[40:41], v[36:37], off offset:512
	s_or_b64 exec, exec, s[0:1]
	s_and_saveexec_b64 s[0:1], s[4:5]
	s_cbranch_execz .LBB20_49
.LBB20_70:
	s_waitcnt lgkmcnt(9)
	global_store_dwordx2 v[40:41], v[38:39], off offset:1024
	s_or_b64 exec, exec, s[0:1]
	s_and_saveexec_b64 s[0:1], s[6:7]
	s_cbranch_execz .LBB20_50
.LBB20_71:
	s_waitcnt lgkmcnt(8)
	global_store_dwordx2 v[40:41], v[32:33], off offset:1536
	s_or_b64 exec, exec, s[0:1]
	s_and_saveexec_b64 s[0:1], s[8:9]
	s_cbranch_execz .LBB20_51
.LBB20_72:
	s_waitcnt lgkmcnt(8)
	global_store_dwordx2 v[40:41], v[34:35], off offset:2048
	s_or_b64 exec, exec, s[0:1]
	s_and_saveexec_b64 s[0:1], s[10:11]
	s_cbranch_execz .LBB20_52
.LBB20_73:
	s_waitcnt lgkmcnt(7)
	global_store_dwordx2 v[40:41], v[28:29], off offset:2560
	s_or_b64 exec, exec, s[0:1]
	s_and_saveexec_b64 s[0:1], s[12:13]
	s_cbranch_execz .LBB20_53
.LBB20_74:
	s_waitcnt lgkmcnt(7)
	global_store_dwordx2 v[40:41], v[30:31], off offset:3072
	s_or_b64 exec, exec, s[0:1]
	s_and_saveexec_b64 s[0:1], s[14:15]
	s_cbranch_execz .LBB20_54
.LBB20_75:
	s_waitcnt lgkmcnt(6)
	global_store_dwordx2 v[40:41], v[24:25], off offset:3584
	s_or_b64 exec, exec, s[0:1]
	s_and_saveexec_b64 s[0:1], s[16:17]
	s_cbranch_execz .LBB20_55
.LBB20_76:
	s_waitcnt lgkmcnt(6)
	v_add_co_u32_e32 v24, vcc, 0x1000, v40
	v_addc_co_u32_e32 v25, vcc, 0, v41, vcc
	global_store_dwordx2 v[24:25], v[26:27], off
	s_or_b64 exec, exec, s[0:1]
	s_and_saveexec_b64 s[0:1], s[18:19]
	s_cbranch_execz .LBB20_56
.LBB20_77:
	s_waitcnt lgkmcnt(6)
	v_add_co_u32_e32 v24, vcc, 0x1000, v40
	v_addc_co_u32_e32 v25, vcc, 0, v41, vcc
	s_waitcnt lgkmcnt(5)
	global_store_dwordx2 v[24:25], v[20:21], off offset:512
	s_or_b64 exec, exec, s[0:1]
	s_and_saveexec_b64 s[0:1], s[20:21]
	s_cbranch_execz .LBB20_57
.LBB20_78:
	s_waitcnt lgkmcnt(5)
	v_add_co_u32_e32 v20, vcc, 0x1000, v40
	v_addc_co_u32_e32 v21, vcc, 0, v41, vcc
	global_store_dwordx2 v[20:21], v[22:23], off offset:1024
	s_or_b64 exec, exec, s[0:1]
	s_and_saveexec_b64 s[0:1], s[22:23]
	s_cbranch_execz .LBB20_58
.LBB20_79:
	s_waitcnt lgkmcnt(5)
	v_add_co_u32_e32 v20, vcc, 0x1000, v40
	v_addc_co_u32_e32 v21, vcc, 0, v41, vcc
	s_waitcnt lgkmcnt(4)
	global_store_dwordx2 v[20:21], v[16:17], off offset:1536
	s_or_b64 exec, exec, s[0:1]
	s_and_saveexec_b64 s[0:1], s[24:25]
	s_cbranch_execz .LBB20_59
.LBB20_80:
	s_waitcnt lgkmcnt(4)
	v_add_co_u32_e32 v16, vcc, 0x1000, v40
	v_addc_co_u32_e32 v17, vcc, 0, v41, vcc
	global_store_dwordx2 v[16:17], v[18:19], off offset:2048
	s_or_b64 exec, exec, s[0:1]
	s_and_saveexec_b64 s[0:1], s[26:27]
	s_cbranch_execz .LBB20_60
.LBB20_81:
	s_waitcnt lgkmcnt(4)
	v_add_co_u32_e32 v16, vcc, 0x1000, v40
	v_addc_co_u32_e32 v17, vcc, 0, v41, vcc
	s_waitcnt lgkmcnt(3)
	global_store_dwordx2 v[16:17], v[12:13], off offset:2560
	s_or_b64 exec, exec, s[0:1]
	s_and_saveexec_b64 s[0:1], s[28:29]
	s_cbranch_execz .LBB20_61
.LBB20_82:
	s_waitcnt lgkmcnt(3)
	v_add_co_u32_e32 v12, vcc, 0x1000, v40
	v_addc_co_u32_e32 v13, vcc, 0, v41, vcc
	global_store_dwordx2 v[12:13], v[14:15], off offset:3072
	s_or_b64 exec, exec, s[0:1]
	s_and_saveexec_b64 s[0:1], s[30:31]
	s_cbranch_execz .LBB20_62
.LBB20_83:
	s_waitcnt lgkmcnt(3)
	v_add_co_u32_e32 v12, vcc, 0x1000, v40
	v_addc_co_u32_e32 v13, vcc, 0, v41, vcc
	s_waitcnt lgkmcnt(2)
	global_store_dwordx2 v[12:13], v[8:9], off offset:3584
	s_or_b64 exec, exec, s[0:1]
	s_and_saveexec_b64 s[0:1], s[34:35]
	s_cbranch_execz .LBB20_63
.LBB20_84:
	s_waitcnt lgkmcnt(2)
	v_add_co_u32_e32 v8, vcc, 0x2000, v40
	v_addc_co_u32_e32 v9, vcc, 0, v41, vcc
	global_store_dwordx2 v[8:9], v[10:11], off
	s_or_b64 exec, exec, s[0:1]
	s_and_saveexec_b64 s[0:1], s[36:37]
	s_cbranch_execz .LBB20_64
.LBB20_85:
	s_waitcnt lgkmcnt(2)
	v_add_co_u32_e32 v8, vcc, 0x2000, v40
	v_addc_co_u32_e32 v9, vcc, 0, v41, vcc
	s_waitcnt lgkmcnt(1)
	global_store_dwordx2 v[8:9], v[4:5], off offset:512
	s_or_b64 exec, exec, s[0:1]
	s_and_saveexec_b64 s[0:1], s[38:39]
	s_cbranch_execz .LBB20_65
.LBB20_86:
	s_waitcnt lgkmcnt(1)
	v_add_co_u32_e32 v4, vcc, 0x2000, v40
	v_addc_co_u32_e32 v5, vcc, 0, v41, vcc
	global_store_dwordx2 v[4:5], v[6:7], off offset:1024
	s_or_b64 exec, exec, s[0:1]
	s_and_saveexec_b64 s[0:1], s[40:41]
	s_cbranch_execz .LBB20_66
.LBB20_87:
	s_waitcnt lgkmcnt(1)
	v_add_co_u32_e32 v4, vcc, 0x2000, v40
	v_addc_co_u32_e32 v5, vcc, 0, v41, vcc
	s_waitcnt lgkmcnt(0)
	global_store_dwordx2 v[4:5], v[0:1], off offset:1536
	s_or_b64 exec, exec, s[0:1]
	s_and_saveexec_b64 s[0:1], s[42:43]
	s_cbranch_execz .LBB20_67
.LBB20_88:
	s_waitcnt lgkmcnt(0)
	v_add_co_u32_e32 v0, vcc, 0x2000, v40
	v_addc_co_u32_e32 v1, vcc, 0, v41, vcc
	global_store_dwordx2 v[0:1], v[2:3], off offset:2048
	s_endpgm
	.section	.rodata,"a",@progbits
	.p2align	6, 0x0
	.amdhsa_kernel _ZN7rocprim17ROCPRIM_304000_NS6detail18single_scan_kernelILb1ENS1_19wrapped_scan_configINS0_14default_configElEEPKlPlN2at4cuda3cub12_GLOBAL__N_15SumOpIlEEllEEvT1_mT4_T2_T3_
		.amdhsa_group_segment_fixed_size 10752
		.amdhsa_private_segment_fixed_size 0
		.amdhsa_kernarg_size 36
		.amdhsa_user_sgpr_count 6
		.amdhsa_user_sgpr_private_segment_buffer 1
		.amdhsa_user_sgpr_dispatch_ptr 0
		.amdhsa_user_sgpr_queue_ptr 0
		.amdhsa_user_sgpr_kernarg_segment_ptr 1
		.amdhsa_user_sgpr_dispatch_id 0
		.amdhsa_user_sgpr_flat_scratch_init 0
		.amdhsa_user_sgpr_kernarg_preload_length 0
		.amdhsa_user_sgpr_kernarg_preload_offset 0
		.amdhsa_user_sgpr_private_segment_size 0
		.amdhsa_uses_dynamic_stack 0
		.amdhsa_system_sgpr_private_segment_wavefront_offset 0
		.amdhsa_system_sgpr_workgroup_id_x 1
		.amdhsa_system_sgpr_workgroup_id_y 0
		.amdhsa_system_sgpr_workgroup_id_z 0
		.amdhsa_system_sgpr_workgroup_info 0
		.amdhsa_system_vgpr_workitem_id 0
		.amdhsa_next_free_vgpr 52
		.amdhsa_next_free_sgpr 54
		.amdhsa_accum_offset 52
		.amdhsa_reserve_vcc 1
		.amdhsa_reserve_flat_scratch 0
		.amdhsa_float_round_mode_32 0
		.amdhsa_float_round_mode_16_64 0
		.amdhsa_float_denorm_mode_32 3
		.amdhsa_float_denorm_mode_16_64 3
		.amdhsa_dx10_clamp 1
		.amdhsa_ieee_mode 1
		.amdhsa_fp16_overflow 0
		.amdhsa_tg_split 0
		.amdhsa_exception_fp_ieee_invalid_op 0
		.amdhsa_exception_fp_denorm_src 0
		.amdhsa_exception_fp_ieee_div_zero 0
		.amdhsa_exception_fp_ieee_overflow 0
		.amdhsa_exception_fp_ieee_underflow 0
		.amdhsa_exception_fp_ieee_inexact 0
		.amdhsa_exception_int_div_zero 0
	.end_amdhsa_kernel
	.section	.text._ZN7rocprim17ROCPRIM_304000_NS6detail18single_scan_kernelILb1ENS1_19wrapped_scan_configINS0_14default_configElEEPKlPlN2at4cuda3cub12_GLOBAL__N_15SumOpIlEEllEEvT1_mT4_T2_T3_,"axG",@progbits,_ZN7rocprim17ROCPRIM_304000_NS6detail18single_scan_kernelILb1ENS1_19wrapped_scan_configINS0_14default_configElEEPKlPlN2at4cuda3cub12_GLOBAL__N_15SumOpIlEEllEEvT1_mT4_T2_T3_,comdat
.Lfunc_end20:
	.size	_ZN7rocprim17ROCPRIM_304000_NS6detail18single_scan_kernelILb1ENS1_19wrapped_scan_configINS0_14default_configElEEPKlPlN2at4cuda3cub12_GLOBAL__N_15SumOpIlEEllEEvT1_mT4_T2_T3_, .Lfunc_end20-_ZN7rocprim17ROCPRIM_304000_NS6detail18single_scan_kernelILb1ENS1_19wrapped_scan_configINS0_14default_configElEEPKlPlN2at4cuda3cub12_GLOBAL__N_15SumOpIlEEllEEvT1_mT4_T2_T3_
                                        ; -- End function
	.section	.AMDGPU.csdata,"",@progbits
; Kernel info:
; codeLenInByte = 3288
; NumSgprs: 58
; NumVgprs: 52
; NumAgprs: 0
; TotalNumVgprs: 52
; ScratchSize: 0
; MemoryBound: 0
; FloatMode: 240
; IeeeMode: 1
; LDSByteSize: 10752 bytes/workgroup (compile time only)
; SGPRBlocks: 7
; VGPRBlocks: 6
; NumSGPRsForWavesPerEU: 58
; NumVGPRsForWavesPerEU: 52
; AccumOffset: 52
; Occupancy: 2
; WaveLimiterHint : 0
; COMPUTE_PGM_RSRC2:SCRATCH_EN: 0
; COMPUTE_PGM_RSRC2:USER_SGPR: 6
; COMPUTE_PGM_RSRC2:TRAP_HANDLER: 0
; COMPUTE_PGM_RSRC2:TGID_X_EN: 1
; COMPUTE_PGM_RSRC2:TGID_Y_EN: 0
; COMPUTE_PGM_RSRC2:TGID_Z_EN: 0
; COMPUTE_PGM_RSRC2:TIDIG_COMP_CNT: 0
; COMPUTE_PGM_RSRC3_GFX90A:ACCUM_OFFSET: 12
; COMPUTE_PGM_RSRC3_GFX90A:TG_SPLIT: 0
	.section	.text._ZN7rocprim17ROCPRIM_304000_NS6detail20lookback_scan_kernelILNS1_25lookback_scan_determinismE0ELb1ENS1_19wrapped_scan_configINS0_14default_configElEEN6hipcub22TransformInputIteratorIbN2at4cuda3cub12_GLOBAL__N_111CountMaskOpEPKhlEEPlNSC_5SumOpIlEEllNS1_19lookback_scan_stateIlLb1ELb1EEEEEvT2_T3_mT5_T4_T7_jPT6_SS_bb,"axG",@progbits,_ZN7rocprim17ROCPRIM_304000_NS6detail20lookback_scan_kernelILNS1_25lookback_scan_determinismE0ELb1ENS1_19wrapped_scan_configINS0_14default_configElEEN6hipcub22TransformInputIteratorIbN2at4cuda3cub12_GLOBAL__N_111CountMaskOpEPKhlEEPlNSC_5SumOpIlEEllNS1_19lookback_scan_stateIlLb1ELb1EEEEEvT2_T3_mT5_T4_T7_jPT6_SS_bb,comdat
	.globl	_ZN7rocprim17ROCPRIM_304000_NS6detail20lookback_scan_kernelILNS1_25lookback_scan_determinismE0ELb1ENS1_19wrapped_scan_configINS0_14default_configElEEN6hipcub22TransformInputIteratorIbN2at4cuda3cub12_GLOBAL__N_111CountMaskOpEPKhlEEPlNSC_5SumOpIlEEllNS1_19lookback_scan_stateIlLb1ELb1EEEEEvT2_T3_mT5_T4_T7_jPT6_SS_bb ; -- Begin function _ZN7rocprim17ROCPRIM_304000_NS6detail20lookback_scan_kernelILNS1_25lookback_scan_determinismE0ELb1ENS1_19wrapped_scan_configINS0_14default_configElEEN6hipcub22TransformInputIteratorIbN2at4cuda3cub12_GLOBAL__N_111CountMaskOpEPKhlEEPlNSC_5SumOpIlEEllNS1_19lookback_scan_stateIlLb1ELb1EEEEEvT2_T3_mT5_T4_T7_jPT6_SS_bb
	.p2align	8
	.type	_ZN7rocprim17ROCPRIM_304000_NS6detail20lookback_scan_kernelILNS1_25lookback_scan_determinismE0ELb1ENS1_19wrapped_scan_configINS0_14default_configElEEN6hipcub22TransformInputIteratorIbN2at4cuda3cub12_GLOBAL__N_111CountMaskOpEPKhlEEPlNSC_5SumOpIlEEllNS1_19lookback_scan_stateIlLb1ELb1EEEEEvT2_T3_mT5_T4_T7_jPT6_SS_bb,@function
_ZN7rocprim17ROCPRIM_304000_NS6detail20lookback_scan_kernelILNS1_25lookback_scan_determinismE0ELb1ENS1_19wrapped_scan_configINS0_14default_configElEEN6hipcub22TransformInputIteratorIbN2at4cuda3cub12_GLOBAL__N_111CountMaskOpEPKhlEEPlNSC_5SumOpIlEEllNS1_19lookback_scan_stateIlLb1ELb1EEEEEvT2_T3_mT5_T4_T7_jPT6_SS_bb: ; @_ZN7rocprim17ROCPRIM_304000_NS6detail20lookback_scan_kernelILNS1_25lookback_scan_determinismE0ELb1ENS1_19wrapped_scan_configINS0_14default_configElEEN6hipcub22TransformInputIteratorIbN2at4cuda3cub12_GLOBAL__N_111CountMaskOpEPKhlEEPlNSC_5SumOpIlEEllNS1_19lookback_scan_stateIlLb1ELb1EEEEEvT2_T3_mT5_T4_T7_jPT6_SS_bb
; %bb.0:
	s_endpgm
	.section	.rodata,"a",@progbits
	.p2align	6, 0x0
	.amdhsa_kernel _ZN7rocprim17ROCPRIM_304000_NS6detail20lookback_scan_kernelILNS1_25lookback_scan_determinismE0ELb1ENS1_19wrapped_scan_configINS0_14default_configElEEN6hipcub22TransformInputIteratorIbN2at4cuda3cub12_GLOBAL__N_111CountMaskOpEPKhlEEPlNSC_5SumOpIlEEllNS1_19lookback_scan_stateIlLb1ELb1EEEEEvT2_T3_mT5_T4_T7_jPT6_SS_bb
		.amdhsa_group_segment_fixed_size 0
		.amdhsa_private_segment_fixed_size 0
		.amdhsa_kernarg_size 84
		.amdhsa_user_sgpr_count 6
		.amdhsa_user_sgpr_private_segment_buffer 1
		.amdhsa_user_sgpr_dispatch_ptr 0
		.amdhsa_user_sgpr_queue_ptr 0
		.amdhsa_user_sgpr_kernarg_segment_ptr 1
		.amdhsa_user_sgpr_dispatch_id 0
		.amdhsa_user_sgpr_flat_scratch_init 0
		.amdhsa_user_sgpr_kernarg_preload_length 0
		.amdhsa_user_sgpr_kernarg_preload_offset 0
		.amdhsa_user_sgpr_private_segment_size 0
		.amdhsa_uses_dynamic_stack 0
		.amdhsa_system_sgpr_private_segment_wavefront_offset 0
		.amdhsa_system_sgpr_workgroup_id_x 1
		.amdhsa_system_sgpr_workgroup_id_y 0
		.amdhsa_system_sgpr_workgroup_id_z 0
		.amdhsa_system_sgpr_workgroup_info 0
		.amdhsa_system_vgpr_workitem_id 0
		.amdhsa_next_free_vgpr 1
		.amdhsa_next_free_sgpr 0
		.amdhsa_accum_offset 4
		.amdhsa_reserve_vcc 0
		.amdhsa_reserve_flat_scratch 0
		.amdhsa_float_round_mode_32 0
		.amdhsa_float_round_mode_16_64 0
		.amdhsa_float_denorm_mode_32 3
		.amdhsa_float_denorm_mode_16_64 3
		.amdhsa_dx10_clamp 1
		.amdhsa_ieee_mode 1
		.amdhsa_fp16_overflow 0
		.amdhsa_tg_split 0
		.amdhsa_exception_fp_ieee_invalid_op 0
		.amdhsa_exception_fp_denorm_src 0
		.amdhsa_exception_fp_ieee_div_zero 0
		.amdhsa_exception_fp_ieee_overflow 0
		.amdhsa_exception_fp_ieee_underflow 0
		.amdhsa_exception_fp_ieee_inexact 0
		.amdhsa_exception_int_div_zero 0
	.end_amdhsa_kernel
	.section	.text._ZN7rocprim17ROCPRIM_304000_NS6detail20lookback_scan_kernelILNS1_25lookback_scan_determinismE0ELb1ENS1_19wrapped_scan_configINS0_14default_configElEEN6hipcub22TransformInputIteratorIbN2at4cuda3cub12_GLOBAL__N_111CountMaskOpEPKhlEEPlNSC_5SumOpIlEEllNS1_19lookback_scan_stateIlLb1ELb1EEEEEvT2_T3_mT5_T4_T7_jPT6_SS_bb,"axG",@progbits,_ZN7rocprim17ROCPRIM_304000_NS6detail20lookback_scan_kernelILNS1_25lookback_scan_determinismE0ELb1ENS1_19wrapped_scan_configINS0_14default_configElEEN6hipcub22TransformInputIteratorIbN2at4cuda3cub12_GLOBAL__N_111CountMaskOpEPKhlEEPlNSC_5SumOpIlEEllNS1_19lookback_scan_stateIlLb1ELb1EEEEEvT2_T3_mT5_T4_T7_jPT6_SS_bb,comdat
.Lfunc_end21:
	.size	_ZN7rocprim17ROCPRIM_304000_NS6detail20lookback_scan_kernelILNS1_25lookback_scan_determinismE0ELb1ENS1_19wrapped_scan_configINS0_14default_configElEEN6hipcub22TransformInputIteratorIbN2at4cuda3cub12_GLOBAL__N_111CountMaskOpEPKhlEEPlNSC_5SumOpIlEEllNS1_19lookback_scan_stateIlLb1ELb1EEEEEvT2_T3_mT5_T4_T7_jPT6_SS_bb, .Lfunc_end21-_ZN7rocprim17ROCPRIM_304000_NS6detail20lookback_scan_kernelILNS1_25lookback_scan_determinismE0ELb1ENS1_19wrapped_scan_configINS0_14default_configElEEN6hipcub22TransformInputIteratorIbN2at4cuda3cub12_GLOBAL__N_111CountMaskOpEPKhlEEPlNSC_5SumOpIlEEllNS1_19lookback_scan_stateIlLb1ELb1EEEEEvT2_T3_mT5_T4_T7_jPT6_SS_bb
                                        ; -- End function
	.section	.AMDGPU.csdata,"",@progbits
; Kernel info:
; codeLenInByte = 4
; NumSgprs: 4
; NumVgprs: 0
; NumAgprs: 0
; TotalNumVgprs: 0
; ScratchSize: 0
; MemoryBound: 0
; FloatMode: 240
; IeeeMode: 1
; LDSByteSize: 0 bytes/workgroup (compile time only)
; SGPRBlocks: 0
; VGPRBlocks: 0
; NumSGPRsForWavesPerEU: 4
; NumVGPRsForWavesPerEU: 1
; AccumOffset: 4
; Occupancy: 8
; WaveLimiterHint : 0
; COMPUTE_PGM_RSRC2:SCRATCH_EN: 0
; COMPUTE_PGM_RSRC2:USER_SGPR: 6
; COMPUTE_PGM_RSRC2:TRAP_HANDLER: 0
; COMPUTE_PGM_RSRC2:TGID_X_EN: 1
; COMPUTE_PGM_RSRC2:TGID_Y_EN: 0
; COMPUTE_PGM_RSRC2:TGID_Z_EN: 0
; COMPUTE_PGM_RSRC2:TIDIG_COMP_CNT: 0
; COMPUTE_PGM_RSRC3_GFX90A:ACCUM_OFFSET: 0
; COMPUTE_PGM_RSRC3_GFX90A:TG_SPLIT: 0
	.section	.text._ZN7rocprim17ROCPRIM_304000_NS6detail20lookback_scan_kernelILNS1_25lookback_scan_determinismE0ELb1ENS1_19wrapped_scan_configINS0_14default_configElEEN6hipcub22TransformInputIteratorIbN2at4cuda3cub12_GLOBAL__N_111CountMaskOpEPKhlEEPlNSC_5SumOpIlEEllNS1_19lookback_scan_stateIlLb0ELb1EEEEEvT2_T3_mT5_T4_T7_jPT6_SS_bb,"axG",@progbits,_ZN7rocprim17ROCPRIM_304000_NS6detail20lookback_scan_kernelILNS1_25lookback_scan_determinismE0ELb1ENS1_19wrapped_scan_configINS0_14default_configElEEN6hipcub22TransformInputIteratorIbN2at4cuda3cub12_GLOBAL__N_111CountMaskOpEPKhlEEPlNSC_5SumOpIlEEllNS1_19lookback_scan_stateIlLb0ELb1EEEEEvT2_T3_mT5_T4_T7_jPT6_SS_bb,comdat
	.globl	_ZN7rocprim17ROCPRIM_304000_NS6detail20lookback_scan_kernelILNS1_25lookback_scan_determinismE0ELb1ENS1_19wrapped_scan_configINS0_14default_configElEEN6hipcub22TransformInputIteratorIbN2at4cuda3cub12_GLOBAL__N_111CountMaskOpEPKhlEEPlNSC_5SumOpIlEEllNS1_19lookback_scan_stateIlLb0ELb1EEEEEvT2_T3_mT5_T4_T7_jPT6_SS_bb ; -- Begin function _ZN7rocprim17ROCPRIM_304000_NS6detail20lookback_scan_kernelILNS1_25lookback_scan_determinismE0ELb1ENS1_19wrapped_scan_configINS0_14default_configElEEN6hipcub22TransformInputIteratorIbN2at4cuda3cub12_GLOBAL__N_111CountMaskOpEPKhlEEPlNSC_5SumOpIlEEllNS1_19lookback_scan_stateIlLb0ELb1EEEEEvT2_T3_mT5_T4_T7_jPT6_SS_bb
	.p2align	8
	.type	_ZN7rocprim17ROCPRIM_304000_NS6detail20lookback_scan_kernelILNS1_25lookback_scan_determinismE0ELb1ENS1_19wrapped_scan_configINS0_14default_configElEEN6hipcub22TransformInputIteratorIbN2at4cuda3cub12_GLOBAL__N_111CountMaskOpEPKhlEEPlNSC_5SumOpIlEEllNS1_19lookback_scan_stateIlLb0ELb1EEEEEvT2_T3_mT5_T4_T7_jPT6_SS_bb,@function
_ZN7rocprim17ROCPRIM_304000_NS6detail20lookback_scan_kernelILNS1_25lookback_scan_determinismE0ELb1ENS1_19wrapped_scan_configINS0_14default_configElEEN6hipcub22TransformInputIteratorIbN2at4cuda3cub12_GLOBAL__N_111CountMaskOpEPKhlEEPlNSC_5SumOpIlEEllNS1_19lookback_scan_stateIlLb0ELb1EEEEEvT2_T3_mT5_T4_T7_jPT6_SS_bb: ; @_ZN7rocprim17ROCPRIM_304000_NS6detail20lookback_scan_kernelILNS1_25lookback_scan_determinismE0ELb1ENS1_19wrapped_scan_configINS0_14default_configElEEN6hipcub22TransformInputIteratorIbN2at4cuda3cub12_GLOBAL__N_111CountMaskOpEPKhlEEPlNSC_5SumOpIlEEllNS1_19lookback_scan_stateIlLb0ELb1EEEEEvT2_T3_mT5_T4_T7_jPT6_SS_bb
; %bb.0:
	s_load_dword s0, s[4:5], 0x38
	s_load_dwordx2 s[18:19], s[4:5], 0x0
	s_load_dwordx4 s[12:15], s[4:5], 0x10
	s_mul_i32 s16, s6, 0x540
	s_mov_b32 s17, 0
	s_waitcnt lgkmcnt(0)
	s_add_i32 s0, s0, -1
	s_mul_i32 s1, s0, 0x540
	s_sub_u32 s24, s14, s1
	s_subb_u32 s25, s15, 0
	s_cmp_lg_u32 s6, s0
	s_cselect_b64 s[14:15], -1, 0
	s_add_u32 s2, s18, s16
	s_addc_u32 s3, s19, 0
	s_mov_b64 s[0:1], -1
	s_and_b64 vcc, exec, s[14:15]
	v_lshlrev_b32_e32 v58, 3, v0
	s_cbranch_vccz .LBB22_2
; %bb.1:
	global_load_ubyte v1, v0, s[2:3]
	global_load_ubyte v4, v0, s[2:3] offset:64
	global_load_ubyte v6, v0, s[2:3] offset:128
	;; [unrolled: 1-line block ×20, first 2 shown]
	v_mov_b32_e32 v3, s17
	v_mov_b32_e32 v5, s17
	v_mov_b32_e32 v7, s17
	v_mov_b32_e32 v9, s17
	v_mov_b32_e32 v11, s17
	v_mov_b32_e32 v13, s17
	v_mov_b32_e32 v15, s17
	v_mov_b32_e32 v17, s17
	v_mov_b32_e32 v19, s17
	v_mov_b32_e32 v21, s17
	v_mov_b32_e32 v23, s17
	v_mov_b32_e32 v25, s17
	v_mov_b32_e32 v27, s17
	v_mov_b32_e32 v29, s17
	v_mov_b32_e32 v31, s17
	v_mov_b32_e32 v33, s17
	v_mov_b32_e32 v35, s17
	v_mov_b32_e32 v37, s17
	v_mov_b32_e32 v39, s17
	v_mov_b32_e32 v41, s17
	v_mov_b32_e32 v43, s17
	s_mov_b64 s[0:1], 0
	s_waitcnt vmcnt(20)
	v_cmp_ne_u16_e32 vcc, 0, v1
	v_cndmask_b32_e64 v2, 0, 1, vcc
	s_waitcnt vmcnt(19)
	v_cmp_ne_u16_e32 vcc, 0, v4
	v_cndmask_b32_e64 v4, 0, 1, vcc
	;; [unrolled: 3-line block ×21, first 2 shown]
	ds_write2st64_b64 v58, v[2:3], v[4:5] offset1:1
	ds_write2st64_b64 v58, v[6:7], v[8:9] offset0:2 offset1:3
	ds_write2st64_b64 v58, v[10:11], v[12:13] offset0:4 offset1:5
	ds_write2st64_b64 v58, v[14:15], v[16:17] offset0:6 offset1:7
	ds_write2st64_b64 v58, v[18:19], v[20:21] offset0:8 offset1:9
	ds_write2st64_b64 v58, v[22:23], v[24:25] offset0:10 offset1:11
	ds_write2st64_b64 v58, v[26:27], v[28:29] offset0:12 offset1:13
	ds_write2st64_b64 v58, v[30:31], v[32:33] offset0:14 offset1:15
	ds_write2st64_b64 v58, v[34:35], v[36:37] offset0:16 offset1:17
	ds_write2st64_b64 v58, v[38:39], v[40:41] offset0:18 offset1:19
	ds_write_b64 v58, v[42:43] offset:10240
	s_waitcnt lgkmcnt(0)
	; wave barrier
.LBB22_2:
	s_load_dwordx2 s[20:21], s[4:5], 0x20
	s_andn2_b64 vcc, exec, s[0:1]
	v_cmp_gt_u32_e64 s[0:1], s24, v0
	s_cbranch_vccnz .LBB22_46
; %bb.3:
	v_mov_b32_e32 v1, 0
	global_load_ubyte v1, v1, s[2:3]
	s_mov_b32 s7, 0
	v_mov_b32_e32 v4, s3
	v_mov_b32_e32 v3, s7
	s_waitcnt vmcnt(0)
	v_cmp_ne_u16_e32 vcc, 0, v1
	v_cndmask_b32_e64 v2, 0, 1, vcc
	v_add_co_u32_e32 v6, vcc, s2, v0
	v_addc_co_u32_e32 v7, vcc, 0, v4, vcc
	v_pk_mov_b32 v[4:5], v[2:3], v[2:3] op_sel:[0,1]
	s_and_saveexec_b64 s[2:3], s[0:1]
	s_cbranch_execz .LBB22_5
; %bb.4:
	global_load_ubyte v1, v[6:7], off
	v_mov_b32_e32 v5, s7
	s_waitcnt vmcnt(0)
	v_cmp_ne_u16_e32 vcc, 0, v1
	v_cndmask_b32_e64 v4, 0, 1, vcc
.LBB22_5:
	s_or_b64 exec, exec, s[2:3]
	v_or_b32_e32 v1, 64, v0
	v_cmp_gt_u32_e32 vcc, s24, v1
	v_pk_mov_b32 v[8:9], v[2:3], v[2:3] op_sel:[0,1]
	s_and_saveexec_b64 s[0:1], vcc
	s_cbranch_execz .LBB22_7
; %bb.6:
	global_load_ubyte v1, v[6:7], off offset:64
	s_mov_b32 s2, 0
	v_mov_b32_e32 v9, s2
	s_waitcnt vmcnt(0)
	v_cmp_ne_u16_e32 vcc, 0, v1
	v_cndmask_b32_e64 v8, 0, 1, vcc
.LBB22_7:
	s_or_b64 exec, exec, s[0:1]
	v_or_b32_e32 v1, 0x80, v0
	v_cmp_gt_u32_e32 vcc, s24, v1
	v_pk_mov_b32 v[10:11], v[2:3], v[2:3] op_sel:[0,1]
	s_and_saveexec_b64 s[0:1], vcc
	s_cbranch_execz .LBB22_9
; %bb.8:
	global_load_ubyte v1, v[6:7], off offset:128
	s_mov_b32 s2, 0
	v_mov_b32_e32 v11, s2
	s_waitcnt vmcnt(0)
	v_cmp_ne_u16_e32 vcc, 0, v1
	v_cndmask_b32_e64 v10, 0, 1, vcc
.LBB22_9:
	;; [unrolled: 14-line block ×19, first 2 shown]
	s_or_b64 exec, exec, s[0:1]
	v_or_b32_e32 v1, 0x500, v0
	v_cmp_gt_u32_e32 vcc, s24, v1
	s_and_saveexec_b64 s[0:1], vcc
	s_cbranch_execz .LBB22_45
; %bb.44:
	global_load_ubyte v1, v[6:7], off offset:1280
	s_mov_b32 s2, 0
	v_mov_b32_e32 v3, s2
	s_waitcnt vmcnt(0)
	v_cmp_ne_u16_e32 vcc, 0, v1
	v_cndmask_b32_e64 v2, 0, 1, vcc
.LBB22_45:
	s_or_b64 exec, exec, s[0:1]
	ds_write2st64_b64 v58, v[4:5], v[8:9] offset1:1
	ds_write2st64_b64 v58, v[10:11], v[12:13] offset0:2 offset1:3
	ds_write2st64_b64 v58, v[14:15], v[16:17] offset0:4 offset1:5
	ds_write2st64_b64 v58, v[18:19], v[20:21] offset0:6 offset1:7
	ds_write2st64_b64 v58, v[22:23], v[24:25] offset0:8 offset1:9
	ds_write2st64_b64 v58, v[26:27], v[28:29] offset0:10 offset1:11
	ds_write2st64_b64 v58, v[30:31], v[32:33] offset0:12 offset1:13
	ds_write2st64_b64 v58, v[34:35], v[36:37] offset0:14 offset1:15
	ds_write2st64_b64 v58, v[38:39], v[40:41] offset0:16 offset1:17
	ds_write2st64_b64 v58, v[42:43], v[44:45] offset0:18 offset1:19
	ds_write_b64 v58, v[2:3] offset:10240
	s_waitcnt lgkmcnt(0)
	; wave barrier
.LBB22_46:
	v_mul_u32_u24_e32 v59, 21, v0
	v_lshlrev_b32_e32 v1, 3, v59
	s_waitcnt lgkmcnt(0)
	ds_read2_b64 v[38:41], v1 offset1:1
	ds_read2_b64 v[34:37], v1 offset0:2 offset1:3
	ds_read2_b64 v[30:33], v1 offset0:4 offset1:5
	ds_read2_b64 v[26:29], v1 offset0:6 offset1:7
	ds_read2_b64 v[22:25], v1 offset0:8 offset1:9
	ds_read2_b64 v[18:21], v1 offset0:10 offset1:11
	ds_read2_b64 v[14:17], v1 offset0:12 offset1:13
	ds_read2_b64 v[10:13], v1 offset0:14 offset1:15
	ds_read2_b64 v[6:9], v1 offset0:16 offset1:17
	ds_read2_b64 v[2:5], v1 offset0:18 offset1:19
	ds_read_b64 v[50:51], v1 offset:160
	s_load_dwordx2 s[22:23], s[4:5], 0x30
	s_cmp_lg_u32 s6, 0
	v_mbcnt_lo_u32_b32 v60, -1, 0
	s_waitcnt lgkmcnt(0)
	; wave barrier
	s_waitcnt lgkmcnt(0)
	s_cbranch_scc0 .LBB22_71
; %bb.47:
	v_add_co_u32_e32 v1, vcc, v40, v38
	v_addc_co_u32_e32 v42, vcc, v41, v39, vcc
	v_add_co_u32_e32 v1, vcc, v1, v34
	v_addc_co_u32_e32 v42, vcc, v42, v35, vcc
	;; [unrolled: 2-line block ×20, first 2 shown]
	s_nop 0
	v_mov_b32_dpp v44, v42 row_shr:1 row_mask:0xf bank_mask:0xf
	v_add_co_u32_e32 v44, vcc, v42, v44
	v_addc_co_u32_e32 v46, vcc, 0, v43, vcc
	v_mbcnt_hi_u32_b32 v56, -1, v60
	v_mov_b32_dpp v45, v43 row_shr:1 row_mask:0xf bank_mask:0xf
	v_add_co_u32_e32 v47, vcc, 0, v44
	v_and_b32_e32 v1, 15, v56
	v_addc_co_u32_e32 v45, vcc, v45, v46, vcc
	v_cmp_eq_u32_e32 vcc, 0, v1
	v_cndmask_b32_e32 v44, v44, v42, vcc
	v_cndmask_b32_e32 v45, v45, v43, vcc
	v_cndmask_b32_e32 v46, v47, v42, vcc
	v_mov_b32_dpp v47, v44 row_shr:2 row_mask:0xf bank_mask:0xf
	v_mov_b32_dpp v48, v45 row_shr:2 row_mask:0xf bank_mask:0xf
	v_add_co_u32_e32 v47, vcc, v47, v46
	v_addc_co_u32_e32 v48, vcc, v48, v45, vcc
	v_cmp_lt_u32_e32 vcc, 1, v1
	v_cndmask_b32_e32 v44, v44, v47, vcc
	v_cndmask_b32_e32 v45, v45, v48, vcc
	v_cndmask_b32_e32 v46, v46, v47, vcc
	v_mov_b32_dpp v47, v44 row_shr:4 row_mask:0xf bank_mask:0xf
	v_mov_b32_dpp v48, v45 row_shr:4 row_mask:0xf bank_mask:0xf
	v_add_co_u32_e32 v47, vcc, v47, v46
	v_addc_co_u32_e32 v48, vcc, v48, v45, vcc
	v_cmp_lt_u32_e32 vcc, 3, v1
	;; [unrolled: 8-line block ×3, first 2 shown]
	v_cndmask_b32_e32 v49, v44, v47, vcc
	v_cndmask_b32_e32 v1, v45, v48, vcc
	;; [unrolled: 1-line block ×3, first 2 shown]
	v_mov_b32_dpp v45, v49 row_bcast:15 row_mask:0xf bank_mask:0xf
	v_mov_b32_dpp v46, v1 row_bcast:15 row_mask:0xf bank_mask:0xf
	v_add_co_u32_e32 v45, vcc, v45, v44
	v_and_b32_e32 v47, 16, v56
	v_addc_co_u32_e32 v46, vcc, v46, v1, vcc
	v_cmp_eq_u32_e32 vcc, 0, v47
	v_cndmask_b32_e32 v48, v46, v1, vcc
	v_cndmask_b32_e32 v47, v45, v49, vcc
	v_cmp_eq_u32_e64 s[0:1], 0, v56
	v_mov_b32_dpp v48, v48 row_bcast:31 row_mask:0xf bank_mask:0xf
	v_mov_b32_dpp v47, v47 row_bcast:31 row_mask:0xf bank_mask:0xf
	v_cmp_ne_u32_e64 s[2:3], 0, v56
	s_and_saveexec_b64 s[8:9], s[2:3]
; %bb.48:
	v_cndmask_b32_e32 v1, v46, v1, vcc
	v_cndmask_b32_e32 v42, v45, v44, vcc
	v_cmp_lt_u32_e32 vcc, 31, v56
	v_cndmask_b32_e32 v44, 0, v47, vcc
	v_cndmask_b32_e32 v43, 0, v48, vcc
	v_add_co_u32_e32 v42, vcc, v44, v42
	v_addc_co_u32_e32 v43, vcc, v43, v1, vcc
; %bb.49:
	s_or_b64 exec, exec, s[8:9]
	v_cmp_eq_u32_e32 vcc, 63, v0
	s_and_saveexec_b64 s[2:3], vcc
	s_cbranch_execz .LBB22_51
; %bb.50:
	v_mov_b32_e32 v1, 0
	ds_write_b64 v1, v[42:43]
.LBB22_51:
	s_or_b64 exec, exec, s[2:3]
	v_add_u32_e32 v1, -1, v56
	v_and_b32_e32 v44, 64, v56
	v_cmp_lt_i32_e32 vcc, v1, v44
	v_cndmask_b32_e32 v1, v1, v56, vcc
	v_lshlrev_b32_e32 v44, 2, v1
	ds_bpermute_b32 v1, v44, v42
	ds_bpermute_b32 v61, v44, v43
	v_cmp_gt_u32_e32 vcc, 64, v0
	s_waitcnt lgkmcnt(0)
	; wave barrier
	s_waitcnt lgkmcnt(0)
	s_and_saveexec_b64 s[10:11], vcc
	s_cbranch_execz .LBB22_70
; %bb.52:
	v_mov_b32_e32 v45, 0
	ds_read_b64 v[42:43], v45
	s_and_saveexec_b64 s[2:3], s[0:1]
	s_cbranch_execz .LBB22_54
; %bb.53:
	s_add_i32 s8, s6, 64
	s_mov_b32 s9, 0
	s_lshl_b64 s[8:9], s[8:9], 4
	s_add_u32 s8, s22, s8
	s_addc_u32 s9, s23, s9
	v_mov_b32_e32 v44, 1
	v_pk_mov_b32 v[46:47], s[8:9], s[8:9] op_sel:[0,1]
	s_waitcnt lgkmcnt(0)
	;;#ASMSTART
	global_store_dwordx4 v[46:47], v[42:45] off	
s_waitcnt vmcnt(0)
	;;#ASMEND
.LBB22_54:
	s_or_b64 exec, exec, s[2:3]
	v_xad_u32 v52, v56, -1, s6
	v_add_u32_e32 v44, 64, v52
	v_lshlrev_b64 v[46:47], 4, v[44:45]
	v_mov_b32_e32 v44, s23
	v_add_co_u32_e32 v54, vcc, s22, v46
	v_addc_co_u32_e32 v55, vcc, v44, v47, vcc
	;;#ASMSTART
	global_load_dwordx4 v[46:49], v[54:55] off glc	
s_waitcnt vmcnt(0)
	;;#ASMEND
	v_cmp_eq_u16_sdwa s[8:9], v48, v45 src0_sel:BYTE_0 src1_sel:DWORD
	s_and_saveexec_b64 s[2:3], s[8:9]
	s_cbranch_execz .LBB22_58
; %bb.55:
	s_mov_b64 s[8:9], 0
	v_mov_b32_e32 v44, 0
.LBB22_56:                              ; =>This Inner Loop Header: Depth=1
	;;#ASMSTART
	global_load_dwordx4 v[46:49], v[54:55] off glc	
s_waitcnt vmcnt(0)
	;;#ASMEND
	v_cmp_ne_u16_sdwa s[26:27], v48, v44 src0_sel:BYTE_0 src1_sel:DWORD
	s_or_b64 s[8:9], s[26:27], s[8:9]
	s_andn2_b64 exec, exec, s[8:9]
	s_cbranch_execnz .LBB22_56
; %bb.57:
	s_or_b64 exec, exec, s[8:9]
.LBB22_58:
	s_or_b64 exec, exec, s[2:3]
	v_mov_b32_e32 v62, 2
	v_cmp_eq_u16_sdwa s[2:3], v48, v62 src0_sel:BYTE_0 src1_sel:DWORD
	v_lshlrev_b64 v[44:45], v56, -1
	v_and_b32_e32 v49, s3, v45
	v_or_b32_e32 v49, 0x80000000, v49
	v_and_b32_e32 v53, s2, v44
	v_ffbl_b32_e32 v49, v49
	v_and_b32_e32 v54, 63, v56
	v_add_u32_e32 v49, 32, v49
	v_ffbl_b32_e32 v53, v53
	v_cmp_ne_u32_e32 vcc, 63, v54
	v_min_u32_e32 v49, v53, v49
	v_addc_co_u32_e32 v53, vcc, 0, v56, vcc
	v_lshlrev_b32_e32 v63, 2, v53
	ds_bpermute_b32 v55, v63, v46
	ds_bpermute_b32 v57, v63, v47
	v_cmp_gt_u32_e64 s[2:3], 62, v54
	v_add_u32_e32 v64, 1, v56
	v_cmp_gt_u32_e64 s[8:9], 60, v54
	s_waitcnt lgkmcnt(1)
	v_add_co_u32_e32 v55, vcc, v46, v55
	v_addc_co_u32_e32 v65, vcc, 0, v47, vcc
	v_add_co_u32_e32 v66, vcc, 0, v55
	s_waitcnt lgkmcnt(0)
	v_addc_co_u32_e32 v57, vcc, v57, v65, vcc
	v_cndmask_b32_e64 v65, 0, 1, s[2:3]
	v_cmp_le_u32_e32 vcc, v64, v49
	v_lshlrev_b32_e32 v65, 1, v65
	v_cndmask_b32_e32 v55, v46, v55, vcc
	v_add_lshl_u32 v65, v65, v56, 2
	v_cndmask_b32_e32 v57, v47, v57, vcc
	ds_bpermute_b32 v67, v65, v55
	ds_bpermute_b32 v69, v65, v57
	v_cndmask_b32_e32 v68, v46, v66, vcc
	v_add_u32_e32 v66, 2, v56
	v_mov_b32_e32 v53, 0
	s_waitcnt lgkmcnt(1)
	v_add_co_u32_e64 v67, s[2:3], v67, v68
	s_waitcnt lgkmcnt(0)
	v_addc_co_u32_e64 v69, s[2:3], v69, v57, s[2:3]
	v_cmp_le_u32_e64 s[2:3], v66, v49
	v_cndmask_b32_e64 v55, v55, v67, s[2:3]
	v_cndmask_b32_e64 v57, v57, v69, s[2:3]
	;; [unrolled: 1-line block ×4, first 2 shown]
	v_lshlrev_b32_e32 v67, 2, v67
	v_add_lshl_u32 v67, v67, v56, 2
	ds_bpermute_b32 v70, v67, v55
	ds_bpermute_b32 v71, v67, v57
	s_or_b64 s[8:9], vcc, s[2:3]
	v_add_u32_e32 v68, 4, v56
	v_cmp_gt_u32_e64 s[2:3], 56, v54
	s_waitcnt lgkmcnt(1)
	v_add_co_u32_e32 v70, vcc, v70, v69
	s_waitcnt lgkmcnt(0)
	v_addc_co_u32_e32 v71, vcc, v71, v57, vcc
	v_cmp_le_u32_e32 vcc, v68, v49
	v_cndmask_b32_e32 v57, v57, v71, vcc
	v_cndmask_b32_e32 v71, v69, v70, vcc
	v_cndmask_b32_e64 v69, 0, 1, s[2:3]
	v_lshlrev_b32_e32 v69, 3, v69
	v_cndmask_b32_e32 v55, v55, v70, vcc
	v_add_lshl_u32 v69, v69, v56, 2
	ds_bpermute_b32 v72, v69, v55
	ds_bpermute_b32 v73, v69, v57
	s_or_b64 s[8:9], vcc, s[8:9]
	v_add_u32_e32 v70, 8, v56
	v_cmp_gt_u32_e64 s[2:3], 48, v54
	s_waitcnt lgkmcnt(1)
	v_add_co_u32_e32 v72, vcc, v72, v71
	s_waitcnt lgkmcnt(0)
	v_addc_co_u32_e32 v73, vcc, v73, v57, vcc
	v_cmp_le_u32_e32 vcc, v70, v49
	v_cndmask_b32_e32 v75, v71, v72, vcc
	v_cndmask_b32_e64 v71, 0, 1, s[2:3]
	v_lshlrev_b32_e32 v71, 4, v71
	v_cndmask_b32_e32 v55, v55, v72, vcc
	v_add_lshl_u32 v71, v71, v56, 2
	v_cndmask_b32_e32 v57, v57, v73, vcc
	ds_bpermute_b32 v73, v71, v55
	ds_bpermute_b32 v74, v71, v57
	s_or_b64 s[2:3], vcc, s[8:9]
	v_add_u32_e32 v72, 16, v56
	s_waitcnt lgkmcnt(1)
	v_add_co_u32_e32 v76, vcc, v73, v75
	s_waitcnt lgkmcnt(0)
	v_addc_co_u32_e32 v74, vcc, v74, v57, vcc
	v_cmp_le_u32_e32 vcc, v72, v49
	s_or_b64 s[8:9], vcc, s[2:3]
	v_cmp_gt_u32_e64 s[2:3], 32, v54
	v_cndmask_b32_e64 v54, 0, 1, s[2:3]
	v_lshlrev_b32_e32 v54, 5, v54
	v_cndmask_b32_e32 v55, v55, v76, vcc
	v_add_lshl_u32 v73, v54, v56, 2
	v_cndmask_b32_e32 v54, v57, v74, vcc
	ds_bpermute_b32 v55, v73, v55
	ds_bpermute_b32 v57, v73, v54
	v_add_u32_e32 v74, 32, v56
	v_cndmask_b32_e32 v56, v75, v76, vcc
	v_cmp_le_u32_e32 vcc, v74, v49
	s_waitcnt lgkmcnt(1)
	v_cndmask_b32_e32 v55, 0, v55, vcc
	s_waitcnt lgkmcnt(0)
	v_cndmask_b32_e32 v49, 0, v57, vcc
	v_add_co_u32_e64 v55, s[2:3], v55, v56
	v_addc_co_u32_e64 v49, s[2:3], v49, v54, s[2:3]
	s_or_b64 vcc, vcc, s[8:9]
	v_cndmask_b32_e32 v47, v47, v49, vcc
	v_cndmask_b32_e32 v46, v46, v55, vcc
	s_branch .LBB22_60
.LBB22_59:                              ;   in Loop: Header=BB22_60 Depth=1
	s_or_b64 exec, exec, s[2:3]
	v_cmp_eq_u16_sdwa s[2:3], v48, v62 src0_sel:BYTE_0 src1_sel:DWORD
	v_and_b32_e32 v49, s3, v45
	v_or_b32_e32 v49, 0x80000000, v49
	ds_bpermute_b32 v57, v63, v46
	v_and_b32_e32 v56, s2, v44
	v_ffbl_b32_e32 v49, v49
	v_add_u32_e32 v49, 32, v49
	v_ffbl_b32_e32 v56, v56
	v_min_u32_e32 v49, v56, v49
	ds_bpermute_b32 v56, v63, v47
	s_waitcnt lgkmcnt(1)
	v_add_co_u32_e32 v57, vcc, v46, v57
	v_addc_co_u32_e32 v75, vcc, 0, v47, vcc
	v_add_co_u32_e32 v76, vcc, 0, v57
	s_waitcnt lgkmcnt(0)
	v_addc_co_u32_e32 v56, vcc, v56, v75, vcc
	v_cmp_le_u32_e32 vcc, v64, v49
	v_cndmask_b32_e32 v57, v46, v57, vcc
	ds_bpermute_b32 v75, v65, v57
	v_cndmask_b32_e32 v56, v47, v56, vcc
	ds_bpermute_b32 v77, v65, v56
	v_cndmask_b32_e32 v76, v46, v76, vcc
	v_subrev_u32_e32 v52, 64, v52
	s_waitcnt lgkmcnt(1)
	v_add_co_u32_e64 v75, s[2:3], v75, v76
	s_waitcnt lgkmcnt(0)
	v_addc_co_u32_e64 v77, s[2:3], v77, v56, s[2:3]
	v_cmp_le_u32_e64 s[2:3], v66, v49
	v_cndmask_b32_e64 v57, v57, v75, s[2:3]
	v_cndmask_b32_e64 v56, v56, v77, s[2:3]
	ds_bpermute_b32 v77, v67, v57
	v_cndmask_b32_e64 v75, v76, v75, s[2:3]
	ds_bpermute_b32 v76, v67, v56
	s_or_b64 s[2:3], vcc, s[2:3]
	s_waitcnt lgkmcnt(1)
	v_add_co_u32_e32 v77, vcc, v77, v75
	s_waitcnt lgkmcnt(0)
	v_addc_co_u32_e32 v76, vcc, v76, v56, vcc
	v_cmp_le_u32_e32 vcc, v68, v49
	v_cndmask_b32_e32 v57, v57, v77, vcc
	v_cndmask_b32_e32 v56, v56, v76, vcc
	ds_bpermute_b32 v76, v69, v57
	v_cndmask_b32_e32 v75, v75, v77, vcc
	ds_bpermute_b32 v77, v69, v56
	s_or_b64 s[2:3], vcc, s[2:3]
	s_waitcnt lgkmcnt(1)
	v_add_co_u32_e32 v76, vcc, v76, v75
	s_waitcnt lgkmcnt(0)
	v_addc_co_u32_e32 v77, vcc, v77, v56, vcc
	v_cmp_le_u32_e32 vcc, v70, v49
	v_cndmask_b32_e32 v57, v57, v76, vcc
	v_cndmask_b32_e32 v56, v56, v77, vcc
	ds_bpermute_b32 v77, v71, v57
	v_cndmask_b32_e32 v75, v75, v76, vcc
	ds_bpermute_b32 v76, v71, v56
	s_or_b64 s[2:3], vcc, s[2:3]
	s_waitcnt lgkmcnt(1)
	v_add_co_u32_e32 v77, vcc, v77, v75
	s_waitcnt lgkmcnt(0)
	v_addc_co_u32_e32 v76, vcc, v76, v56, vcc
	v_cmp_le_u32_e32 vcc, v72, v49
	v_cndmask_b32_e32 v57, v57, v77, vcc
	v_cndmask_b32_e32 v56, v56, v76, vcc
	ds_bpermute_b32 v57, v73, v57
	ds_bpermute_b32 v76, v73, v56
	s_or_b64 s[8:9], vcc, s[2:3]
	v_cndmask_b32_e32 v75, v75, v77, vcc
	v_cmp_le_u32_e32 vcc, v74, v49
	s_waitcnt lgkmcnt(1)
	v_cndmask_b32_e32 v57, 0, v57, vcc
	s_waitcnt lgkmcnt(0)
	v_cndmask_b32_e32 v49, 0, v76, vcc
	v_add_co_u32_e64 v57, s[2:3], v57, v75
	s_or_b64 vcc, vcc, s[8:9]
	v_addc_co_u32_e64 v49, s[2:3], v49, v56, s[2:3]
	v_cndmask_b32_e32 v46, v46, v57, vcc
	v_cndmask_b32_e32 v47, v47, v49, vcc
	v_add_co_u32_e32 v46, vcc, v46, v54
	v_addc_co_u32_e32 v47, vcc, v47, v55, vcc
.LBB22_60:                              ; =>This Loop Header: Depth=1
                                        ;     Child Loop BB22_63 Depth 2
	v_cmp_ne_u16_sdwa s[2:3], v48, v62 src0_sel:BYTE_0 src1_sel:DWORD
	v_cndmask_b32_e64 v48, 0, 1, s[2:3]
	;;#ASMSTART
	;;#ASMEND
	v_cmp_ne_u32_e32 vcc, 0, v48
	s_cmp_lg_u64 vcc, exec
	v_pk_mov_b32 v[54:55], v[46:47], v[46:47] op_sel:[0,1]
	s_cbranch_scc1 .LBB22_65
; %bb.61:                               ;   in Loop: Header=BB22_60 Depth=1
	v_lshlrev_b64 v[46:47], 4, v[52:53]
	v_mov_b32_e32 v48, s23
	v_add_co_u32_e32 v56, vcc, s22, v46
	v_addc_co_u32_e32 v57, vcc, v48, v47, vcc
	;;#ASMSTART
	global_load_dwordx4 v[46:49], v[56:57] off glc	
s_waitcnt vmcnt(0)
	;;#ASMEND
	v_cmp_eq_u16_sdwa s[8:9], v48, v53 src0_sel:BYTE_0 src1_sel:DWORD
	s_and_saveexec_b64 s[2:3], s[8:9]
	s_cbranch_execz .LBB22_59
; %bb.62:                               ;   in Loop: Header=BB22_60 Depth=1
	s_mov_b64 s[8:9], 0
.LBB22_63:                              ;   Parent Loop BB22_60 Depth=1
                                        ; =>  This Inner Loop Header: Depth=2
	;;#ASMSTART
	global_load_dwordx4 v[46:49], v[56:57] off glc	
s_waitcnt vmcnt(0)
	;;#ASMEND
	v_cmp_ne_u16_sdwa s[26:27], v48, v53 src0_sel:BYTE_0 src1_sel:DWORD
	s_or_b64 s[8:9], s[26:27], s[8:9]
	s_andn2_b64 exec, exec, s[8:9]
	s_cbranch_execnz .LBB22_63
; %bb.64:                               ;   in Loop: Header=BB22_60 Depth=1
	s_or_b64 exec, exec, s[8:9]
	s_branch .LBB22_59
.LBB22_65:                              ;   in Loop: Header=BB22_60 Depth=1
                                        ; implicit-def: $vgpr46_vgpr47
                                        ; implicit-def: $vgpr48
	s_cbranch_execz .LBB22_60
; %bb.66:
	s_and_saveexec_b64 s[2:3], s[0:1]
	s_cbranch_execz .LBB22_68
; %bb.67:
	s_add_i32 s0, s6, 64
	s_mov_b32 s1, 0
	s_lshl_b64 s[0:1], s[0:1], 4
	s_add_u32 s0, s22, s0
	v_add_co_u32_e32 v42, vcc, v54, v42
	s_addc_u32 s1, s23, s1
	v_addc_co_u32_e32 v43, vcc, v55, v43, vcc
	v_mov_b32_e32 v44, 2
	v_mov_b32_e32 v45, 0
	v_pk_mov_b32 v[46:47], s[0:1], s[0:1] op_sel:[0,1]
	;;#ASMSTART
	global_store_dwordx4 v[46:47], v[42:45] off	
s_waitcnt vmcnt(0)
	;;#ASMEND
.LBB22_68:
	s_or_b64 exec, exec, s[2:3]
	v_cmp_eq_u32_e32 vcc, 0, v0
	s_and_b64 exec, exec, vcc
	s_cbranch_execz .LBB22_70
; %bb.69:
	v_mov_b32_e32 v42, 0
	ds_write_b64 v42, v[54:55]
.LBB22_70:
	s_or_b64 exec, exec, s[10:11]
	v_mov_b32_e32 v42, 0
	s_waitcnt lgkmcnt(0)
	; wave barrier
	s_waitcnt lgkmcnt(0)
	ds_read_b64 v[42:43], v42
	v_cmp_ne_u32_e32 vcc, 0, v0
	v_cndmask_b32_e32 v1, 0, v1, vcc
	v_cndmask_b32_e32 v44, 0, v61, vcc
	s_waitcnt lgkmcnt(0)
	v_add_co_u32_e32 v42, vcc, v42, v1
	v_addc_co_u32_e32 v43, vcc, v43, v44, vcc
	s_load_dwordx4 s[8:11], s[4:5], 0x40
	s_branch .LBB22_81
.LBB22_71:
                                        ; implicit-def: $vgpr42_vgpr43
	s_load_dwordx4 s[8:11], s[4:5], 0x40
	s_cbranch_execz .LBB22_81
; %bb.72:
	s_load_dword s0, s[4:5], 0x50
	v_pk_mov_b32 v[44:45], s[20:21], s[20:21] op_sel:[0,1]
	s_waitcnt lgkmcnt(0)
	s_bitcmp0_b32 s0, 0
	s_cbranch_scc1 .LBB22_74
; %bb.73:
	v_mov_b32_e32 v1, 0
	global_load_ubyte v1, v1, s[18:19] offset:-1
	s_load_dwordx2 s[0:1], s[8:9], 0x0
	s_waitcnt lgkmcnt(0)
	v_mov_b32_e32 v43, s1
	s_waitcnt vmcnt(0)
	v_cmp_ne_u16_e32 vcc, 0, v1
	v_cndmask_b32_e64 v42, 0, 1, vcc
	v_add_co_u32_e32 v44, vcc, s0, v42
	v_addc_co_u32_e32 v45, vcc, 0, v43, vcc
.LBB22_74:
	v_add_co_u32_e32 v1, vcc, v40, v38
	v_addc_co_u32_e32 v42, vcc, v41, v39, vcc
	v_add_co_u32_e32 v1, vcc, v1, v34
	v_addc_co_u32_e32 v42, vcc, v42, v35, vcc
	;; [unrolled: 2-line block ×20, first 2 shown]
	s_nop 0
	v_mov_b32_dpp v46, v42 row_shr:1 row_mask:0xf bank_mask:0xf
	v_add_co_u32_e32 v46, vcc, v42, v46
	v_addc_co_u32_e32 v49, vcc, 0, v43, vcc
	v_mbcnt_hi_u32_b32 v47, -1, v60
	v_mov_b32_dpp v48, v43 row_shr:1 row_mask:0xf bank_mask:0xf
	v_add_co_u32_e32 v50, vcc, 0, v46
	v_and_b32_e32 v1, 15, v47
	v_addc_co_u32_e32 v48, vcc, v48, v49, vcc
	v_cmp_eq_u32_e32 vcc, 0, v1
	v_cndmask_b32_e32 v46, v46, v42, vcc
	v_cndmask_b32_e32 v48, v48, v43, vcc
	v_cndmask_b32_e32 v49, v50, v42, vcc
	v_mov_b32_dpp v50, v46 row_shr:2 row_mask:0xf bank_mask:0xf
	v_mov_b32_dpp v51, v48 row_shr:2 row_mask:0xf bank_mask:0xf
	v_add_co_u32_e32 v50, vcc, v50, v49
	v_addc_co_u32_e32 v51, vcc, v51, v48, vcc
	v_cmp_lt_u32_e32 vcc, 1, v1
	v_cndmask_b32_e32 v46, v46, v50, vcc
	v_cndmask_b32_e32 v48, v48, v51, vcc
	v_cndmask_b32_e32 v49, v49, v50, vcc
	v_mov_b32_dpp v50, v46 row_shr:4 row_mask:0xf bank_mask:0xf
	v_mov_b32_dpp v51, v48 row_shr:4 row_mask:0xf bank_mask:0xf
	v_add_co_u32_e32 v50, vcc, v50, v49
	v_addc_co_u32_e32 v51, vcc, v51, v48, vcc
	v_cmp_lt_u32_e32 vcc, 3, v1
	;; [unrolled: 8-line block ×3, first 2 shown]
	v_cndmask_b32_e32 v52, v46, v50, vcc
	v_cndmask_b32_e32 v1, v48, v51, vcc
	v_cndmask_b32_e32 v46, v49, v50, vcc
	v_mov_b32_dpp v48, v52 row_bcast:15 row_mask:0xf bank_mask:0xf
	v_mov_b32_dpp v49, v1 row_bcast:15 row_mask:0xf bank_mask:0xf
	v_and_b32_e32 v50, 16, v47
	v_add_co_u32_e32 v48, vcc, v48, v46
	v_addc_co_u32_e32 v49, vcc, v49, v1, vcc
	v_cmp_eq_u32_e64 s[0:1], 0, v50
	v_cndmask_b32_e64 v51, v49, v1, s[0:1]
	v_cndmask_b32_e64 v50, v48, v52, s[0:1]
	v_cmp_eq_u32_e32 vcc, 0, v47
	v_mov_b32_dpp v51, v51 row_bcast:31 row_mask:0xf bank_mask:0xf
	v_mov_b32_dpp v50, v50 row_bcast:31 row_mask:0xf bank_mask:0xf
	v_cmp_ne_u32_e64 s[2:3], 0, v47
	s_and_saveexec_b64 s[6:7], s[2:3]
; %bb.75:
	v_cndmask_b32_e64 v1, v49, v1, s[0:1]
	v_cndmask_b32_e64 v42, v48, v46, s[0:1]
	v_cmp_lt_u32_e64 s[0:1], 31, v47
	v_cndmask_b32_e64 v46, 0, v50, s[0:1]
	v_cndmask_b32_e64 v43, 0, v51, s[0:1]
	v_add_co_u32_e64 v42, s[0:1], v46, v42
	v_addc_co_u32_e64 v43, s[0:1], v43, v1, s[0:1]
; %bb.76:
	s_or_b64 exec, exec, s[6:7]
	v_cmp_eq_u32_e64 s[0:1], 63, v0
	s_and_saveexec_b64 s[2:3], s[0:1]
	s_cbranch_execz .LBB22_78
; %bb.77:
	v_mov_b32_e32 v1, 0
	ds_write_b64 v1, v[42:43]
.LBB22_78:
	s_or_b64 exec, exec, s[2:3]
	v_add_co_u32_e64 v1, s[0:1], v42, v44
	v_addc_co_u32_e64 v42, s[0:1], v43, v45, s[0:1]
	v_add_u32_e32 v43, -1, v47
	v_and_b32_e32 v46, 64, v47
	v_cmp_lt_i32_e64 s[0:1], v43, v46
	v_cndmask_b32_e64 v43, v43, v47, s[0:1]
	v_lshlrev_b32_e32 v43, 2, v43
	ds_bpermute_b32 v42, v43, v42
	ds_bpermute_b32 v1, v43, v1
	v_cmp_eq_u32_e64 s[0:1], 0, v0
	s_or_b64 vcc, s[0:1], vcc
	s_waitcnt lgkmcnt(0)
	v_cndmask_b32_e32 v43, v42, v45, vcc
	v_cndmask_b32_e32 v42, v1, v44, vcc
	; wave barrier
	s_and_saveexec_b64 s[2:3], s[0:1]
	s_cbranch_execz .LBB22_80
; %bb.79:
	v_mov_b32_e32 v49, 0
	ds_read_b64 v[42:43], v49
	s_add_u32 s0, s22, 0x400
	s_addc_u32 s1, s23, 0
	v_mov_b32_e32 v48, 2
	s_waitcnt lgkmcnt(0)
	v_add_co_u32_e32 v46, vcc, v42, v44
	v_addc_co_u32_e32 v47, vcc, v43, v45, vcc
	v_pk_mov_b32 v[42:43], s[0:1], s[0:1] op_sel:[0,1]
	;;#ASMSTART
	global_store_dwordx4 v[42:43], v[46:49] off	
s_waitcnt vmcnt(0)
	;;#ASMEND
	v_pk_mov_b32 v[42:43], v[44:45], v[44:45] op_sel:[0,1]
.LBB22_80:
	s_or_b64 exec, exec, s[2:3]
.LBB22_81:
	v_add_co_u32_e32 v44, vcc, v42, v38
	v_addc_co_u32_e32 v45, vcc, v43, v39, vcc
	v_add_co_u32_e32 v38, vcc, v44, v40
	v_addc_co_u32_e32 v39, vcc, v45, v41, vcc
	;; [unrolled: 2-line block ×19, first 2 shown]
	v_add_co_u32_e32 v4, vcc, v2, v4
	s_lshl_b64 s[0:1], s[16:17], 3
	v_addc_co_u32_e32 v5, vcc, v3, v5, vcc
	s_add_u32 s0, s12, s0
	s_addc_u32 s1, s13, s1
	s_mov_b64 s[2:3], -1
	s_and_b64 vcc, exec, s[14:15]
	s_waitcnt lgkmcnt(0)
	; wave barrier
	s_waitcnt lgkmcnt(0)
	s_cbranch_vccz .LBB22_83
; %bb.82:
	v_mul_u32_u24_e32 v1, 0xa8, v0
	s_movk_i32 s2, 0xa8
	ds_write2_b64 v1, v[42:43], v[44:45] offset1:1
	ds_write2_b64 v1, v[38:39], v[40:41] offset0:2 offset1:3
	ds_write2_b64 v1, v[34:35], v[36:37] offset0:4 offset1:5
	;; [unrolled: 1-line block ×9, first 2 shown]
	ds_write_b64 v1, v[4:5] offset:160
	v_mul_i32_i24_e32 v1, 0xffffff60, v0
	v_mad_u32_u24 v1, v0, s2, v1
	s_waitcnt lgkmcnt(0)
	; wave barrier
	s_waitcnt lgkmcnt(0)
	ds_read2st64_b64 v[46:49], v1 offset1:1
	ds_read2st64_b64 v[50:53], v1 offset0:2 offset1:3
	ds_read2st64_b64 v[54:57], v1 offset0:4 offset1:5
	;; [unrolled: 1-line block ×9, first 2 shown]
	ds_read_b64 v[8:9], v1 offset:10240
	v_mov_b32_e32 v1, s1
	v_add_co_u32_e32 v88, vcc, s0, v58
	v_addc_co_u32_e32 v1, vcc, 0, v1, vcc
	s_movk_i32 s2, 0x1000
	s_waitcnt lgkmcnt(10)
	global_store_dwordx2 v58, v[46:47], s[0:1]
	global_store_dwordx2 v58, v[48:49], s[0:1] offset:512
	s_waitcnt lgkmcnt(9)
	global_store_dwordx2 v58, v[50:51], s[0:1] offset:1024
	global_store_dwordx2 v58, v[52:53], s[0:1] offset:1536
	s_waitcnt lgkmcnt(8)
	global_store_dwordx2 v58, v[54:55], s[0:1] offset:2048
	;; [unrolled: 3-line block ×3, first 2 shown]
	global_store_dwordx2 v58, v[62:63], s[0:1] offset:3584
	v_add_co_u32_e32 v46, vcc, s2, v88
	v_addc_co_u32_e32 v47, vcc, 0, v1, vcc
	s_waitcnt lgkmcnt(6)
	global_store_dwordx2 v[46:47], v[64:65], off
	global_store_dwordx2 v[46:47], v[66:67], off offset:512
	s_waitcnt lgkmcnt(5)
	global_store_dwordx2 v[46:47], v[68:69], off offset:1024
	global_store_dwordx2 v[46:47], v[70:71], off offset:1536
	s_waitcnt lgkmcnt(4)
	global_store_dwordx2 v[46:47], v[72:73], off offset:2048
	;; [unrolled: 3-line block ×3, first 2 shown]
	global_store_dwordx2 v[46:47], v[78:79], off offset:3584
	v_add_co_u32_e32 v46, vcc, 0x2000, v88
	v_addc_co_u32_e32 v47, vcc, 0, v1, vcc
	s_waitcnt lgkmcnt(2)
	global_store_dwordx2 v[46:47], v[80:81], off
	global_store_dwordx2 v[46:47], v[82:83], off offset:512
	s_waitcnt lgkmcnt(1)
	global_store_dwordx2 v[46:47], v[84:85], off offset:1024
	global_store_dwordx2 v[46:47], v[86:87], off offset:1536
	s_waitcnt lgkmcnt(0)
	global_store_dwordx2 v[46:47], v[8:9], off offset:2048
	s_mov_b64 s[2:3], 0
.LBB22_83:
	s_andn2_b64 vcc, exec, s[2:3]
	s_cbranch_vccnz .LBB22_204
; %bb.84:
	v_mul_u32_u24_e32 v1, 0xa8, v0
	s_movk_i32 s2, 0xa8
	ds_write2_b64 v1, v[42:43], v[44:45] offset1:1
	ds_write2_b64 v1, v[38:39], v[40:41] offset0:2 offset1:3
	ds_write2_b64 v1, v[34:35], v[36:37] offset0:4 offset1:5
	;; [unrolled: 1-line block ×9, first 2 shown]
	ds_write_b64 v1, v[4:5] offset:160
	v_mul_i32_i24_e32 v2, 0xffffff60, v0
	v_mad_u32_u24 v42, v0, s2, v2
	s_waitcnt lgkmcnt(0)
	; wave barrier
	s_waitcnt lgkmcnt(0)
	ds_read2st64_b64 v[6:9], v42 offset1:1
	ds_read2st64_b64 v[10:13], v42 offset0:2 offset1:3
	ds_read2st64_b64 v[14:17], v42 offset0:4 offset1:5
	;; [unrolled: 1-line block ×9, first 2 shown]
	ds_read_b64 v[42:43], v42 offset:10240
	v_mov_b32_e32 v45, s1
	v_add_co_u32_e32 v44, vcc, s0, v58
	v_addc_co_u32_e32 v45, vcc, 0, v45, vcc
	v_mov_b32_e32 v1, 0
	v_cmp_gt_u32_e32 vcc, s24, v0
	s_and_saveexec_b64 s[0:1], vcc
	s_cbranch_execz .LBB22_86
; %bb.85:
	s_waitcnt lgkmcnt(10)
	global_store_dwordx2 v[44:45], v[6:7], off
.LBB22_86:
	s_or_b64 exec, exec, s[0:1]
	v_or_b32_e32 v46, 64, v0
	v_cmp_gt_u32_e32 vcc, s24, v46
	s_and_saveexec_b64 s[0:1], vcc
	s_cbranch_execz .LBB22_88
; %bb.87:
	s_waitcnt lgkmcnt(10)
	global_store_dwordx2 v[44:45], v[8:9], off offset:512
.LBB22_88:
	s_or_b64 exec, exec, s[0:1]
	v_or_b32_e32 v46, 0x80, v0
	v_cmp_gt_u32_e32 vcc, s24, v46
	s_and_saveexec_b64 s[0:1], vcc
	s_cbranch_execz .LBB22_90
; %bb.89:
	s_waitcnt lgkmcnt(9)
	global_store_dwordx2 v[44:45], v[10:11], off offset:1024
.LBB22_90:
	;; [unrolled: 9-line block ×7, first 2 shown]
	s_or_b64 exec, exec, s[0:1]
	v_or_b32_e32 v46, 0x200, v0
	v_cmp_gt_u32_e32 vcc, s24, v46
	s_and_saveexec_b64 s[0:1], vcc
	s_cbranch_execz .LBB22_102
; %bb.101:
	v_add_co_u32_e32 v46, vcc, 0x1000, v44
	v_addc_co_u32_e32 v47, vcc, 0, v45, vcc
	s_waitcnt lgkmcnt(6)
	global_store_dwordx2 v[46:47], v[18:19], off
.LBB22_102:
	s_or_b64 exec, exec, s[0:1]
	v_or_b32_e32 v46, 0x240, v0
	v_cmp_gt_u32_e32 vcc, s24, v46
	s_and_saveexec_b64 s[0:1], vcc
	s_cbranch_execz .LBB22_104
; %bb.103:
	v_add_co_u32_e32 v46, vcc, 0x1000, v44
	v_addc_co_u32_e32 v47, vcc, 0, v45, vcc
	s_waitcnt lgkmcnt(6)
	global_store_dwordx2 v[46:47], v[20:21], off offset:512
.LBB22_104:
	s_or_b64 exec, exec, s[0:1]
	v_or_b32_e32 v46, 0x280, v0
	v_cmp_gt_u32_e32 vcc, s24, v46
	s_and_saveexec_b64 s[0:1], vcc
	s_cbranch_execz .LBB22_106
; %bb.105:
	v_add_co_u32_e32 v46, vcc, 0x1000, v44
	v_addc_co_u32_e32 v47, vcc, 0, v45, vcc
	s_waitcnt lgkmcnt(5)
	global_store_dwordx2 v[46:47], v[2:3], off offset:1024
.LBB22_106:
	;; [unrolled: 11-line block ×7, first 2 shown]
	s_or_b64 exec, exec, s[0:1]
	v_or_b32_e32 v46, 0x400, v0
	v_cmp_gt_u32_e32 vcc, s24, v46
	s_and_saveexec_b64 s[0:1], vcc
	s_cbranch_execz .LBB22_118
; %bb.117:
	v_add_co_u32_e32 v46, vcc, 0x2000, v44
	v_addc_co_u32_e32 v47, vcc, 0, v45, vcc
	s_waitcnt lgkmcnt(2)
	global_store_dwordx2 v[46:47], v[38:39], off
.LBB22_118:
	s_or_b64 exec, exec, s[0:1]
	v_or_b32_e32 v46, 0x440, v0
	v_cmp_gt_u32_e32 vcc, s24, v46
	s_and_saveexec_b64 s[0:1], vcc
	s_cbranch_execz .LBB22_120
; %bb.119:
	v_add_co_u32_e32 v46, vcc, 0x2000, v44
	v_addc_co_u32_e32 v47, vcc, 0, v45, vcc
	s_waitcnt lgkmcnt(2)
	global_store_dwordx2 v[46:47], v[40:41], off offset:512
.LBB22_120:
	s_or_b64 exec, exec, s[0:1]
	v_or_b32_e32 v46, 0x480, v0
	v_cmp_gt_u32_e32 vcc, s24, v46
	s_and_saveexec_b64 s[0:1], vcc
	s_cbranch_execz .LBB22_122
; %bb.121:
	v_add_co_u32_e32 v46, vcc, 0x2000, v44
	v_addc_co_u32_e32 v47, vcc, 0, v45, vcc
	s_waitcnt lgkmcnt(1)
	global_store_dwordx2 v[46:47], v[34:35], off offset:1024
.LBB22_122:
	;; [unrolled: 11-line block ×4, first 2 shown]
	s_or_b64 exec, exec, s[0:1]
	s_load_dword s0, s[4:5], 0x50
	s_waitcnt lgkmcnt(0)
	s_bfe_u32 s0, s0, 0x10008
	s_cmp_eq_u32 s0, 0
	s_cbranch_scc1 .LBB22_204
; %bb.127:
	s_add_u32 s0, s24, -1
	s_addc_u32 s1, s25, -1
	s_add_u32 s2, 0, 0x30c26c00
	s_addc_u32 s3, 0, 44
	s_add_i32 s3, s3, 0xc30c2e0
	s_mul_hi_u32 s7, s2, 0xffffffeb
	s_sub_i32 s7, s7, s2
	s_mul_i32 s8, s3, 0xffffffeb
	s_mul_i32 s4, s2, 0xffffffeb
	s_add_i32 s7, s7, s8
	s_mul_hi_u32 s5, s3, s4
	s_mul_i32 s6, s3, s4
	s_mul_i32 s9, s2, s7
	s_mul_hi_u32 s4, s2, s4
	s_mul_hi_u32 s8, s2, s7
	s_add_u32 s4, s4, s9
	s_addc_u32 s8, 0, s8
	s_add_u32 s4, s4, s6
	s_mul_hi_u32 s9, s3, s7
	s_addc_u32 s4, s8, s5
	s_addc_u32 s5, s9, 0
	s_mul_i32 s6, s3, s7
	s_add_u32 s4, s4, s6
	v_mov_b32_e32 v44, s4
	s_addc_u32 s5, 0, s5
	v_add_co_u32_e32 v44, vcc, s2, v44
	s_cmp_lg_u64 vcc, 0
	s_addc_u32 s2, s3, s5
	v_readfirstlane_b32 s5, v44
	s_mul_i32 s4, s0, s2
	s_mul_hi_u32 s6, s0, s5
	s_mul_hi_u32 s3, s0, s2
	s_add_u32 s4, s6, s4
	s_addc_u32 s3, 0, s3
	s_mul_hi_u32 s7, s1, s5
	s_mul_i32 s5, s1, s5
	s_add_u32 s4, s4, s5
	s_mul_hi_u32 s6, s1, s2
	s_addc_u32 s3, s3, s7
	s_addc_u32 s4, s6, 0
	s_mul_i32 s2, s1, s2
	s_add_u32 s2, s3, s2
	s_addc_u32 s3, 0, s4
	s_add_u32 s4, s2, 1
	s_addc_u32 s5, s3, 0
	s_add_u32 s6, s2, 2
	s_mul_i32 s8, s3, 21
	s_mul_hi_u32 s9, s2, 21
	s_addc_u32 s7, s3, 0
	s_add_i32 s9, s9, s8
	s_mul_i32 s8, s2, 21
	v_mov_b32_e32 v44, s8
	v_sub_co_u32_e32 v44, vcc, s0, v44
	s_cmp_lg_u64 vcc, 0
	s_subb_u32 s8, s1, s9
	v_subrev_co_u32_e32 v45, vcc, 21, v44
	s_cmp_lg_u64 vcc, 0
	s_subb_u32 s9, s8, 0
	v_readfirstlane_b32 s12, v45
	s_cmp_gt_u32 s12, 20
	s_cselect_b32 s12, -1, 0
	s_cmp_eq_u32 s9, 0
	s_cselect_b32 s9, s12, -1
	s_cmp_lg_u32 s9, 0
	s_cselect_b32 s4, s6, s4
	v_readfirstlane_b32 s6, v44
	s_cselect_b32 s5, s7, s5
	s_cmp_gt_u32 s6, 20
	s_cselect_b32 s6, -1, 0
	s_cmp_eq_u32 s8, 0
	s_cselect_b32 s6, s6, -1
	s_cmp_lg_u32 s6, 0
	s_cselect_b32 s3, s5, s3
	s_cselect_b32 s2, s4, s2
	v_cmp_eq_u64_e32 vcc, s[2:3], v[0:1]
	s_and_saveexec_b64 s[2:3], vcc
	s_cbranch_execz .LBB22_204
; %bb.128:
	v_mul_hi_u32_u24_e32 v1, 21, v0
	v_mov_b32_e32 v44, s1
	v_sub_co_u32_e32 v0, vcc, s0, v59
	v_subb_co_u32_e32 v1, vcc, v44, v1, vcc
	v_cmp_lt_i64_e32 vcc, 10, v[0:1]
	s_and_saveexec_b64 s[0:1], vcc
	s_xor_b64 s[0:1], exec, s[0:1]
	s_cbranch_execz .LBB22_166
; %bb.129:
	v_cmp_lt_i64_e32 vcc, 15, v[0:1]
	s_and_saveexec_b64 s[2:3], vcc
	s_xor_b64 s[2:3], exec, s[2:3]
	s_cbranch_execz .LBB22_147
; %bb.130:
	;; [unrolled: 5-line block ×5, first 2 shown]
	v_mov_b32_e32 v0, 0
	global_store_dwordx2 v0, v[42:43], s[10:11]
                                        ; implicit-def: $vgpr34_vgpr35_vgpr36_vgpr37
.LBB22_134:
	s_andn2_saveexec_b64 s[8:9], s[8:9]
	s_cbranch_execz .LBB22_136
; %bb.135:
	v_mov_b32_e32 v0, 0
	global_store_dwordx2 v0, v[36:37], s[10:11]
.LBB22_136:
	s_or_b64 exec, exec, s[8:9]
                                        ; implicit-def: $vgpr34_vgpr35_vgpr36_vgpr37
.LBB22_137:
	s_andn2_saveexec_b64 s[6:7], s[6:7]
	s_cbranch_execz .LBB22_139
; %bb.138:
	v_mov_b32_e32 v0, 0
	global_store_dwordx2 v0, v[34:35], s[10:11]
.LBB22_139:
	s_or_b64 exec, exec, s[6:7]
                                        ; implicit-def: $vgpr38_vgpr39_vgpr40_vgpr41
                                        ; implicit-def: $vgpr0_vgpr1
.LBB22_140:
	s_andn2_saveexec_b64 s[4:5], s[4:5]
	s_cbranch_execz .LBB22_146
; %bb.141:
	v_cmp_lt_i64_e32 vcc, 16, v[0:1]
	s_and_saveexec_b64 s[6:7], vcc
	s_xor_b64 s[6:7], exec, s[6:7]
	s_cbranch_execz .LBB22_143
; %bb.142:
	v_mov_b32_e32 v0, 0
	global_store_dwordx2 v0, v[40:41], s[10:11]
                                        ; implicit-def: $vgpr38_vgpr39_vgpr40_vgpr41
.LBB22_143:
	s_andn2_saveexec_b64 s[6:7], s[6:7]
	s_cbranch_execz .LBB22_145
; %bb.144:
	v_mov_b32_e32 v0, 0
	global_store_dwordx2 v0, v[38:39], s[10:11]
.LBB22_145:
	s_or_b64 exec, exec, s[6:7]
.LBB22_146:
	s_or_b64 exec, exec, s[4:5]
                                        ; implicit-def: $vgpr0_vgpr1
                                        ; implicit-def: $vgpr2_vgpr3_vgpr4_vgpr5
                                        ; implicit-def: $vgpr22_vgpr23_vgpr24_vgpr25
                                        ; implicit-def: $vgpr30_vgpr31_vgpr32_vgpr33
.LBB22_147:
	s_andn2_saveexec_b64 s[2:3], s[2:3]
	s_cbranch_execz .LBB22_165
; %bb.148:
	v_cmp_lt_i64_e32 vcc, 12, v[0:1]
	s_and_saveexec_b64 s[4:5], vcc
	s_xor_b64 s[4:5], exec, s[4:5]
	s_cbranch_execz .LBB22_158
; %bb.149:
	v_cmp_lt_i64_e32 vcc, 13, v[0:1]
	s_and_saveexec_b64 s[6:7], vcc
	s_xor_b64 s[6:7], exec, s[6:7]
	;; [unrolled: 5-line block ×3, first 2 shown]
	s_cbranch_execz .LBB22_152
; %bb.151:
	v_mov_b32_e32 v0, 0
	global_store_dwordx2 v0, v[32:33], s[10:11]
                                        ; implicit-def: $vgpr30_vgpr31_vgpr32_vgpr33
.LBB22_152:
	s_andn2_saveexec_b64 s[8:9], s[8:9]
	s_cbranch_execz .LBB22_154
; %bb.153:
	v_mov_b32_e32 v0, 0
	global_store_dwordx2 v0, v[30:31], s[10:11]
.LBB22_154:
	s_or_b64 exec, exec, s[8:9]
                                        ; implicit-def: $vgpr22_vgpr23_vgpr24_vgpr25
.LBB22_155:
	s_andn2_saveexec_b64 s[6:7], s[6:7]
	s_cbranch_execz .LBB22_157
; %bb.156:
	v_mov_b32_e32 v0, 0
	global_store_dwordx2 v0, v[24:25], s[10:11]
.LBB22_157:
	s_or_b64 exec, exec, s[6:7]
                                        ; implicit-def: $vgpr2_vgpr3_vgpr4_vgpr5
                                        ; implicit-def: $vgpr0_vgpr1
                                        ; implicit-def: $vgpr22_vgpr23_vgpr24_vgpr25
.LBB22_158:
	s_andn2_saveexec_b64 s[4:5], s[4:5]
	s_cbranch_execz .LBB22_164
; %bb.159:
	v_cmp_lt_i64_e32 vcc, 11, v[0:1]
	s_and_saveexec_b64 s[6:7], vcc
	s_xor_b64 s[6:7], exec, s[6:7]
	s_cbranch_execz .LBB22_161
; %bb.160:
	v_mov_b32_e32 v0, 0
	global_store_dwordx2 v0, v[22:23], s[10:11]
                                        ; implicit-def: $vgpr2_vgpr3_vgpr4_vgpr5
.LBB22_161:
	s_andn2_saveexec_b64 s[6:7], s[6:7]
	s_cbranch_execz .LBB22_163
; %bb.162:
	v_mov_b32_e32 v0, 0
	global_store_dwordx2 v0, v[4:5], s[10:11]
.LBB22_163:
	s_or_b64 exec, exec, s[6:7]
.LBB22_164:
	s_or_b64 exec, exec, s[4:5]
.LBB22_165:
	s_or_b64 exec, exec, s[2:3]
                                        ; implicit-def: $vgpr0_vgpr1
                                        ; implicit-def: $vgpr26_vgpr27_vgpr28_vgpr29
                                        ; implicit-def: $vgpr10_vgpr11_vgpr12_vgpr13
                                        ; implicit-def: $vgpr6_vgpr7_vgpr8_vgpr9
                                        ; implicit-def: $vgpr18_vgpr19_vgpr20_vgpr21
                                        ; implicit-def: $vgpr14_vgpr15_vgpr16_vgpr17
                                        ; implicit-def: $vgpr2_vgpr3_vgpr4_vgpr5
.LBB22_166:
	s_andn2_saveexec_b64 s[0:1], s[0:1]
	s_cbranch_execz .LBB22_204
; %bb.167:
	v_cmp_lt_i64_e32 vcc, 5, v[0:1]
	s_and_saveexec_b64 s[0:1], vcc
	s_xor_b64 s[0:1], exec, s[0:1]
	s_cbranch_execz .LBB22_185
; %bb.168:
	v_cmp_lt_i64_e32 vcc, 7, v[0:1]
	s_and_saveexec_b64 s[2:3], vcc
	s_xor_b64 s[2:3], exec, s[2:3]
	;; [unrolled: 5-line block ×4, first 2 shown]
	s_cbranch_execz .LBB22_172
; %bb.171:
	v_mov_b32_e32 v0, 0
	global_store_dwordx2 v0, v[2:3], s[10:11]
                                        ; implicit-def: $vgpr18_vgpr19_vgpr20_vgpr21
.LBB22_172:
	s_andn2_saveexec_b64 s[6:7], s[6:7]
	s_cbranch_execz .LBB22_174
; %bb.173:
	v_mov_b32_e32 v0, 0
	global_store_dwordx2 v0, v[20:21], s[10:11]
.LBB22_174:
	s_or_b64 exec, exec, s[6:7]
                                        ; implicit-def: $vgpr18_vgpr19_vgpr20_vgpr21
.LBB22_175:
	s_andn2_saveexec_b64 s[4:5], s[4:5]
	s_cbranch_execz .LBB22_177
; %bb.176:
	v_mov_b32_e32 v0, 0
	global_store_dwordx2 v0, v[18:19], s[10:11]
.LBB22_177:
	s_or_b64 exec, exec, s[4:5]
                                        ; implicit-def: $vgpr26_vgpr27_vgpr28_vgpr29
                                        ; implicit-def: $vgpr0_vgpr1
.LBB22_178:
	s_andn2_saveexec_b64 s[2:3], s[2:3]
	s_cbranch_execz .LBB22_184
; %bb.179:
	v_cmp_lt_i64_e32 vcc, 6, v[0:1]
	s_and_saveexec_b64 s[4:5], vcc
	s_xor_b64 s[4:5], exec, s[4:5]
	s_cbranch_execz .LBB22_181
; %bb.180:
	v_mov_b32_e32 v0, 0
	global_store_dwordx2 v0, v[28:29], s[10:11]
                                        ; implicit-def: $vgpr26_vgpr27_vgpr28_vgpr29
.LBB22_181:
	s_andn2_saveexec_b64 s[4:5], s[4:5]
	s_cbranch_execz .LBB22_183
; %bb.182:
	v_mov_b32_e32 v0, 0
	global_store_dwordx2 v0, v[26:27], s[10:11]
.LBB22_183:
	s_or_b64 exec, exec, s[4:5]
.LBB22_184:
	s_or_b64 exec, exec, s[2:3]
                                        ; implicit-def: $vgpr0_vgpr1
                                        ; implicit-def: $vgpr10_vgpr11_vgpr12_vgpr13
                                        ; implicit-def: $vgpr6_vgpr7_vgpr8_vgpr9
                                        ; implicit-def: $vgpr14_vgpr15_vgpr16_vgpr17
.LBB22_185:
	s_andn2_saveexec_b64 s[0:1], s[0:1]
	s_cbranch_execz .LBB22_204
; %bb.186:
	v_cmp_lt_i64_e32 vcc, 2, v[0:1]
	s_and_saveexec_b64 s[0:1], vcc
	s_xor_b64 s[0:1], exec, s[0:1]
	s_cbranch_execz .LBB22_196
; %bb.187:
	v_cmp_lt_i64_e32 vcc, 3, v[0:1]
	s_and_saveexec_b64 s[2:3], vcc
	s_xor_b64 s[2:3], exec, s[2:3]
	;; [unrolled: 5-line block ×3, first 2 shown]
	s_cbranch_execz .LBB22_190
; %bb.189:
	v_mov_b32_e32 v0, 0
	global_store_dwordx2 v0, v[16:17], s[10:11]
                                        ; implicit-def: $vgpr14_vgpr15_vgpr16_vgpr17
.LBB22_190:
	s_andn2_saveexec_b64 s[4:5], s[4:5]
	s_cbranch_execz .LBB22_192
; %bb.191:
	v_mov_b32_e32 v0, 0
	global_store_dwordx2 v0, v[14:15], s[10:11]
.LBB22_192:
	s_or_b64 exec, exec, s[4:5]
                                        ; implicit-def: $vgpr10_vgpr11_vgpr12_vgpr13
.LBB22_193:
	s_andn2_saveexec_b64 s[2:3], s[2:3]
	s_cbranch_execz .LBB22_195
; %bb.194:
	v_mov_b32_e32 v0, 0
	global_store_dwordx2 v0, v[12:13], s[10:11]
.LBB22_195:
	s_or_b64 exec, exec, s[2:3]
                                        ; implicit-def: $vgpr0_vgpr1
                                        ; implicit-def: $vgpr10_vgpr11_vgpr12_vgpr13
                                        ; implicit-def: $vgpr6_vgpr7_vgpr8_vgpr9
.LBB22_196:
	s_andn2_saveexec_b64 s[0:1], s[0:1]
	s_cbranch_execz .LBB22_204
; %bb.197:
	v_cmp_lt_i64_e32 vcc, 1, v[0:1]
	s_and_saveexec_b64 s[0:1], vcc
	s_xor_b64 s[0:1], exec, s[0:1]
	s_cbranch_execz .LBB22_199
; %bb.198:
	v_mov_b32_e32 v0, 0
	global_store_dwordx2 v0, v[10:11], s[10:11]
                                        ; implicit-def: $vgpr6_vgpr7_vgpr8_vgpr9
                                        ; implicit-def: $vgpr0_vgpr1
.LBB22_199:
	s_andn2_saveexec_b64 s[0:1], s[0:1]
	s_cbranch_execz .LBB22_204
; %bb.200:
	v_cmp_ne_u64_e32 vcc, 1, v[0:1]
	s_and_saveexec_b64 s[0:1], vcc
	s_xor_b64 s[0:1], exec, s[0:1]
	s_cbranch_execz .LBB22_202
; %bb.201:
	v_mov_b32_e32 v0, 0
	global_store_dwordx2 v0, v[6:7], s[10:11]
                                        ; implicit-def: $vgpr6_vgpr7_vgpr8_vgpr9
.LBB22_202:
	s_andn2_saveexec_b64 s[0:1], s[0:1]
	s_cbranch_execz .LBB22_204
; %bb.203:
	v_mov_b32_e32 v0, 0
	global_store_dwordx2 v0, v[8:9], s[10:11]
.LBB22_204:
	s_endpgm
	.section	.rodata,"a",@progbits
	.p2align	6, 0x0
	.amdhsa_kernel _ZN7rocprim17ROCPRIM_304000_NS6detail20lookback_scan_kernelILNS1_25lookback_scan_determinismE0ELb1ENS1_19wrapped_scan_configINS0_14default_configElEEN6hipcub22TransformInputIteratorIbN2at4cuda3cub12_GLOBAL__N_111CountMaskOpEPKhlEEPlNSC_5SumOpIlEEllNS1_19lookback_scan_stateIlLb0ELb1EEEEEvT2_T3_mT5_T4_T7_jPT6_SS_bb
		.amdhsa_group_segment_fixed_size 10752
		.amdhsa_private_segment_fixed_size 0
		.amdhsa_kernarg_size 84
		.amdhsa_user_sgpr_count 6
		.amdhsa_user_sgpr_private_segment_buffer 1
		.amdhsa_user_sgpr_dispatch_ptr 0
		.amdhsa_user_sgpr_queue_ptr 0
		.amdhsa_user_sgpr_kernarg_segment_ptr 1
		.amdhsa_user_sgpr_dispatch_id 0
		.amdhsa_user_sgpr_flat_scratch_init 0
		.amdhsa_user_sgpr_kernarg_preload_length 0
		.amdhsa_user_sgpr_kernarg_preload_offset 0
		.amdhsa_user_sgpr_private_segment_size 0
		.amdhsa_uses_dynamic_stack 0
		.amdhsa_system_sgpr_private_segment_wavefront_offset 0
		.amdhsa_system_sgpr_workgroup_id_x 1
		.amdhsa_system_sgpr_workgroup_id_y 0
		.amdhsa_system_sgpr_workgroup_id_z 0
		.amdhsa_system_sgpr_workgroup_info 0
		.amdhsa_system_vgpr_workitem_id 0
		.amdhsa_next_free_vgpr 89
		.amdhsa_next_free_sgpr 28
		.amdhsa_accum_offset 92
		.amdhsa_reserve_vcc 1
		.amdhsa_reserve_flat_scratch 0
		.amdhsa_float_round_mode_32 0
		.amdhsa_float_round_mode_16_64 0
		.amdhsa_float_denorm_mode_32 3
		.amdhsa_float_denorm_mode_16_64 3
		.amdhsa_dx10_clamp 1
		.amdhsa_ieee_mode 1
		.amdhsa_fp16_overflow 0
		.amdhsa_tg_split 0
		.amdhsa_exception_fp_ieee_invalid_op 0
		.amdhsa_exception_fp_denorm_src 0
		.amdhsa_exception_fp_ieee_div_zero 0
		.amdhsa_exception_fp_ieee_overflow 0
		.amdhsa_exception_fp_ieee_underflow 0
		.amdhsa_exception_fp_ieee_inexact 0
		.amdhsa_exception_int_div_zero 0
	.end_amdhsa_kernel
	.section	.text._ZN7rocprim17ROCPRIM_304000_NS6detail20lookback_scan_kernelILNS1_25lookback_scan_determinismE0ELb1ENS1_19wrapped_scan_configINS0_14default_configElEEN6hipcub22TransformInputIteratorIbN2at4cuda3cub12_GLOBAL__N_111CountMaskOpEPKhlEEPlNSC_5SumOpIlEEllNS1_19lookback_scan_stateIlLb0ELb1EEEEEvT2_T3_mT5_T4_T7_jPT6_SS_bb,"axG",@progbits,_ZN7rocprim17ROCPRIM_304000_NS6detail20lookback_scan_kernelILNS1_25lookback_scan_determinismE0ELb1ENS1_19wrapped_scan_configINS0_14default_configElEEN6hipcub22TransformInputIteratorIbN2at4cuda3cub12_GLOBAL__N_111CountMaskOpEPKhlEEPlNSC_5SumOpIlEEllNS1_19lookback_scan_stateIlLb0ELb1EEEEEvT2_T3_mT5_T4_T7_jPT6_SS_bb,comdat
.Lfunc_end22:
	.size	_ZN7rocprim17ROCPRIM_304000_NS6detail20lookback_scan_kernelILNS1_25lookback_scan_determinismE0ELb1ENS1_19wrapped_scan_configINS0_14default_configElEEN6hipcub22TransformInputIteratorIbN2at4cuda3cub12_GLOBAL__N_111CountMaskOpEPKhlEEPlNSC_5SumOpIlEEllNS1_19lookback_scan_stateIlLb0ELb1EEEEEvT2_T3_mT5_T4_T7_jPT6_SS_bb, .Lfunc_end22-_ZN7rocprim17ROCPRIM_304000_NS6detail20lookback_scan_kernelILNS1_25lookback_scan_determinismE0ELb1ENS1_19wrapped_scan_configINS0_14default_configElEEN6hipcub22TransformInputIteratorIbN2at4cuda3cub12_GLOBAL__N_111CountMaskOpEPKhlEEPlNSC_5SumOpIlEEllNS1_19lookback_scan_stateIlLb0ELb1EEEEEvT2_T3_mT5_T4_T7_jPT6_SS_bb
                                        ; -- End function
	.section	.AMDGPU.csdata,"",@progbits
; Kernel info:
; codeLenInByte = 8152
; NumSgprs: 32
; NumVgprs: 89
; NumAgprs: 0
; TotalNumVgprs: 89
; ScratchSize: 0
; MemoryBound: 0
; FloatMode: 240
; IeeeMode: 1
; LDSByteSize: 10752 bytes/workgroup (compile time only)
; SGPRBlocks: 3
; VGPRBlocks: 11
; NumSGPRsForWavesPerEU: 32
; NumVGPRsForWavesPerEU: 89
; AccumOffset: 92
; Occupancy: 2
; WaveLimiterHint : 1
; COMPUTE_PGM_RSRC2:SCRATCH_EN: 0
; COMPUTE_PGM_RSRC2:USER_SGPR: 6
; COMPUTE_PGM_RSRC2:TRAP_HANDLER: 0
; COMPUTE_PGM_RSRC2:TGID_X_EN: 1
; COMPUTE_PGM_RSRC2:TGID_Y_EN: 0
; COMPUTE_PGM_RSRC2:TGID_Z_EN: 0
; COMPUTE_PGM_RSRC2:TIDIG_COMP_CNT: 0
; COMPUTE_PGM_RSRC3_GFX90A:ACCUM_OFFSET: 22
; COMPUTE_PGM_RSRC3_GFX90A:TG_SPLIT: 0
	.section	.text._ZN7rocprim17ROCPRIM_304000_NS6detail18single_scan_kernelILb1ENS1_19wrapped_scan_configINS0_14default_configElEEN6hipcub22TransformInputIteratorIbN2at4cuda3cub12_GLOBAL__N_111CountMaskOpEPKhlEEPlNSB_5SumOpIlEEllEEvT1_mT4_T2_T3_,"axG",@progbits,_ZN7rocprim17ROCPRIM_304000_NS6detail18single_scan_kernelILb1ENS1_19wrapped_scan_configINS0_14default_configElEEN6hipcub22TransformInputIteratorIbN2at4cuda3cub12_GLOBAL__N_111CountMaskOpEPKhlEEPlNSB_5SumOpIlEEllEEvT1_mT4_T2_T3_,comdat
	.globl	_ZN7rocprim17ROCPRIM_304000_NS6detail18single_scan_kernelILb1ENS1_19wrapped_scan_configINS0_14default_configElEEN6hipcub22TransformInputIteratorIbN2at4cuda3cub12_GLOBAL__N_111CountMaskOpEPKhlEEPlNSB_5SumOpIlEEllEEvT1_mT4_T2_T3_ ; -- Begin function _ZN7rocprim17ROCPRIM_304000_NS6detail18single_scan_kernelILb1ENS1_19wrapped_scan_configINS0_14default_configElEEN6hipcub22TransformInputIteratorIbN2at4cuda3cub12_GLOBAL__N_111CountMaskOpEPKhlEEPlNSB_5SumOpIlEEllEEvT1_mT4_T2_T3_
	.p2align	8
	.type	_ZN7rocprim17ROCPRIM_304000_NS6detail18single_scan_kernelILb1ENS1_19wrapped_scan_configINS0_14default_configElEEN6hipcub22TransformInputIteratorIbN2at4cuda3cub12_GLOBAL__N_111CountMaskOpEPKhlEEPlNSB_5SumOpIlEEllEEvT1_mT4_T2_T3_,@function
_ZN7rocprim17ROCPRIM_304000_NS6detail18single_scan_kernelILb1ENS1_19wrapped_scan_configINS0_14default_configElEEN6hipcub22TransformInputIteratorIbN2at4cuda3cub12_GLOBAL__N_111CountMaskOpEPKhlEEPlNSB_5SumOpIlEEllEEvT1_mT4_T2_T3_: ; @_ZN7rocprim17ROCPRIM_304000_NS6detail18single_scan_kernelILb1ENS1_19wrapped_scan_configINS0_14default_configElEEN6hipcub22TransformInputIteratorIbN2at4cuda3cub12_GLOBAL__N_111CountMaskOpEPKhlEEPlNSB_5SumOpIlEEllEEvT1_mT4_T2_T3_
; %bb.0:
	s_load_dwordx2 s[0:1], s[4:5], 0x0
	s_load_dwordx4 s[48:51], s[4:5], 0x10
	v_mov_b32_e32 v1, 0
	s_mov_b32 s6, 0
	v_mov_b32_e32 v3, s6
	s_waitcnt lgkmcnt(0)
	global_load_ubyte v1, v1, s[0:1]
	v_mov_b32_e32 v2, s1
	v_add_co_u32_e32 v6, vcc, s0, v0
	v_addc_co_u32_e32 v7, vcc, 0, v2, vcc
	s_waitcnt vmcnt(0)
	v_cmp_ne_u16_e32 vcc, 0, v1
	v_cndmask_b32_e64 v2, 0, 1, vcc
	v_cmp_gt_u32_e32 vcc, s48, v0
	v_pk_mov_b32 v[4:5], v[2:3], v[2:3] op_sel:[0,1]
	s_and_saveexec_b64 s[2:3], vcc
	s_cbranch_execz .LBB23_2
; %bb.1:
	global_load_ubyte v1, v[6:7], off
	v_mov_b32_e32 v5, s6
	s_waitcnt vmcnt(0)
	v_cmp_ne_u16_e64 s[0:1], 0, v1
	v_cndmask_b32_e64 v4, 0, 1, s[0:1]
.LBB23_2:
	s_or_b64 exec, exec, s[2:3]
	v_or_b32_e32 v1, 64, v0
	v_cmp_gt_u32_e64 s[0:1], s48, v1
	v_pk_mov_b32 v[8:9], v[2:3], v[2:3] op_sel:[0,1]
	s_and_saveexec_b64 s[6:7], s[0:1]
	s_cbranch_execz .LBB23_4
; %bb.3:
	global_load_ubyte v1, v[6:7], off offset:64
	s_mov_b32 s8, 0
	v_mov_b32_e32 v9, s8
	s_waitcnt vmcnt(0)
	v_cmp_ne_u16_e64 s[2:3], 0, v1
	v_cndmask_b32_e64 v8, 0, 1, s[2:3]
.LBB23_4:
	s_or_b64 exec, exec, s[6:7]
	v_or_b32_e32 v1, 0x80, v0
	v_cmp_gt_u32_e64 s[2:3], s48, v1
	v_pk_mov_b32 v[10:11], v[2:3], v[2:3] op_sel:[0,1]
	s_and_saveexec_b64 s[8:9], s[2:3]
	s_cbranch_execz .LBB23_6
; %bb.5:
	global_load_ubyte v1, v[6:7], off offset:128
	s_mov_b32 s10, 0
	v_mov_b32_e32 v11, s10
	s_waitcnt vmcnt(0)
	v_cmp_ne_u16_e64 s[6:7], 0, v1
	v_cndmask_b32_e64 v10, 0, 1, s[6:7]
.LBB23_6:
	;; [unrolled: 14-line block ×19, first 2 shown]
	s_or_b64 exec, exec, s[44:45]
	s_load_dwordx2 s[52:53], s[4:5], 0x20
	v_or_b32_e32 v1, 0x500, v0
	v_cmp_gt_u32_e64 s[40:41], s48, v1
	s_and_saveexec_b64 s[44:45], s[40:41]
	s_cbranch_execz .LBB23_42
; %bb.41:
	global_load_ubyte v1, v[6:7], off offset:1280
	s_mov_b32 s33, 0
	v_mov_b32_e32 v3, s33
	s_waitcnt vmcnt(0)
	v_cmp_ne_u16_e64 s[4:5], 0, v1
	v_cndmask_b32_e64 v2, 0, 1, s[4:5]
.LBB23_42:
	s_or_b64 exec, exec, s[44:45]
	v_lshlrev_b32_e32 v46, 3, v0
	s_movk_i32 s4, 0xa0
	v_mad_u32_u24 v1, v0, s4, v46
	ds_write2st64_b64 v46, v[4:5], v[8:9] offset1:1
	ds_write2st64_b64 v46, v[10:11], v[12:13] offset0:2 offset1:3
	ds_write2st64_b64 v46, v[14:15], v[16:17] offset0:4 offset1:5
	;; [unrolled: 1-line block ×9, first 2 shown]
	ds_write_b64 v46, v[2:3] offset:10240
	s_waitcnt lgkmcnt(0)
	; wave barrier
	s_waitcnt lgkmcnt(0)
	ds_read2_b64 v[2:5], v1 offset1:1
	ds_read2_b64 v[6:9], v1 offset0:2 offset1:3
	ds_read2_b64 v[10:13], v1 offset0:4 offset1:5
	ds_read2_b64 v[14:17], v1 offset0:6 offset1:7
	ds_read2_b64 v[18:21], v1 offset0:8 offset1:9
	ds_read2_b64 v[22:25], v1 offset0:10 offset1:11
	ds_read2_b64 v[26:29], v1 offset0:12 offset1:13
	ds_read2_b64 v[30:33], v1 offset0:14 offset1:15
	ds_read2_b64 v[34:37], v1 offset0:16 offset1:17
	ds_read2_b64 v[38:41], v1 offset0:18 offset1:19
	ds_read_b64 v[42:43], v1 offset:160
	s_waitcnt lgkmcnt(10)
	v_add_co_u32_e64 v1, s[4:5], v4, v2
	v_addc_co_u32_e64 v44, s[4:5], v5, v3, s[4:5]
	s_waitcnt lgkmcnt(9)
	v_add_co_u32_e64 v1, s[4:5], v1, v6
	v_addc_co_u32_e64 v44, s[4:5], v44, v7, s[4:5]
	v_add_co_u32_e64 v1, s[4:5], v1, v8
	v_addc_co_u32_e64 v44, s[4:5], v44, v9, s[4:5]
	s_waitcnt lgkmcnt(8)
	v_add_co_u32_e64 v1, s[4:5], v1, v10
	v_addc_co_u32_e64 v44, s[4:5], v44, v11, s[4:5]
	;; [unrolled: 5-line block ×10, first 2 shown]
	s_nop 0
	v_mov_b32_dpp v44, v42 row_shr:1 row_mask:0xf bank_mask:0xf
	v_add_co_u32_e64 v44, s[4:5], v42, v44
	v_mbcnt_lo_u32_b32 v1, -1, 0
	v_addc_co_u32_e64 v48, s[4:5], 0, v43, s[4:5]
	v_mbcnt_hi_u32_b32 v45, -1, v1
	v_mov_b32_dpp v47, v43 row_shr:1 row_mask:0xf bank_mask:0xf
	v_add_co_u32_e64 v49, s[4:5], 0, v44
	v_and_b32_e32 v1, 15, v45
	v_addc_co_u32_e64 v47, s[4:5], v47, v48, s[4:5]
	v_cmp_eq_u32_e64 s[4:5], 0, v1
	v_cndmask_b32_e64 v44, v44, v42, s[4:5]
	v_cndmask_b32_e64 v47, v47, v43, s[4:5]
	v_cndmask_b32_e64 v48, v49, v42, s[4:5]
	v_mov_b32_dpp v49, v44 row_shr:2 row_mask:0xf bank_mask:0xf
	v_mov_b32_dpp v50, v47 row_shr:2 row_mask:0xf bank_mask:0xf
	v_add_co_u32_e64 v49, s[4:5], v49, v48
	v_addc_co_u32_e64 v50, s[4:5], v50, v47, s[4:5]
	v_cmp_lt_u32_e64 s[4:5], 1, v1
	v_cndmask_b32_e64 v44, v44, v49, s[4:5]
	v_cndmask_b32_e64 v47, v47, v50, s[4:5]
	v_cndmask_b32_e64 v48, v48, v49, s[4:5]
	v_mov_b32_dpp v49, v44 row_shr:4 row_mask:0xf bank_mask:0xf
	v_mov_b32_dpp v50, v47 row_shr:4 row_mask:0xf bank_mask:0xf
	v_add_co_u32_e64 v49, s[4:5], v49, v48
	v_addc_co_u32_e64 v50, s[4:5], v50, v47, s[4:5]
	v_cmp_lt_u32_e64 s[4:5], 3, v1
	;; [unrolled: 8-line block ×3, first 2 shown]
	v_cndmask_b32_e64 v51, v44, v49, s[4:5]
	v_cndmask_b32_e64 v1, v47, v50, s[4:5]
	;; [unrolled: 1-line block ×3, first 2 shown]
	v_mov_b32_dpp v47, v51 row_bcast:15 row_mask:0xf bank_mask:0xf
	v_mov_b32_dpp v48, v1 row_bcast:15 row_mask:0xf bank_mask:0xf
	v_and_b32_e32 v50, 16, v45
	v_add_co_u32_e64 v47, s[4:5], v47, v44
	v_addc_co_u32_e64 v49, s[4:5], v48, v1, s[4:5]
	v_cmp_eq_u32_e64 s[44:45], 0, v50
	v_cndmask_b32_e64 v50, v49, v1, s[44:45]
	v_cndmask_b32_e64 v48, v47, v51, s[44:45]
	v_cmp_eq_u32_e64 s[4:5], 0, v45
	v_mov_b32_dpp v50, v50 row_bcast:31 row_mask:0xf bank_mask:0xf
	v_mov_b32_dpp v48, v48 row_bcast:31 row_mask:0xf bank_mask:0xf
	v_cmp_ne_u32_e64 s[46:47], 0, v45
	s_waitcnt lgkmcnt(0)
	; wave barrier
	s_and_saveexec_b64 s[48:49], s[46:47]
; %bb.43:
	v_cndmask_b32_e64 v1, v49, v1, s[44:45]
	v_cndmask_b32_e64 v42, v47, v44, s[44:45]
	v_cmp_lt_u32_e64 s[44:45], 31, v45
	v_cndmask_b32_e64 v44, 0, v48, s[44:45]
	v_cndmask_b32_e64 v43, 0, v50, s[44:45]
	v_add_co_u32_e64 v42, s[44:45], v44, v42
	v_addc_co_u32_e64 v43, s[44:45], v43, v1, s[44:45]
; %bb.44:
	s_or_b64 exec, exec, s[48:49]
	v_mul_u32_u24_e32 v1, 0xa0, v0
	v_cmp_eq_u32_e64 s[44:45], 63, v0
	s_and_saveexec_b64 s[46:47], s[44:45]
	s_cbranch_execz .LBB23_46
; %bb.45:
	v_mov_b32_e32 v44, 0
	ds_write_b64 v44, v[42:43]
.LBB23_46:
	s_or_b64 exec, exec, s[46:47]
	v_mov_b32_e32 v44, s51
	v_add_co_u32_e64 v42, s[44:45], s50, v42
	v_addc_co_u32_e64 v43, s[44:45], v43, v44, s[44:45]
	v_add_u32_e32 v44, -1, v45
	v_and_b32_e32 v47, 64, v45
	v_cmp_lt_i32_e64 s[44:45], v44, v47
	v_cndmask_b32_e64 v44, v44, v45, s[44:45]
	v_lshlrev_b32_e32 v44, 2, v44
	ds_bpermute_b32 v43, v44, v43
	ds_bpermute_b32 v42, v44, v42
	v_cmp_eq_u32_e64 s[44:45], 0, v0
	v_mov_b32_e32 v0, s51
	s_or_b64 s[4:5], s[44:45], s[4:5]
	s_waitcnt lgkmcnt(1)
	v_cndmask_b32_e64 v43, v43, v0, s[4:5]
	v_mov_b32_e32 v0, s50
	s_waitcnt lgkmcnt(0)
	v_cndmask_b32_e64 v42, v42, v0, s[4:5]
	v_add_co_u32_e64 v2, s[4:5], v42, v2
	v_addc_co_u32_e64 v3, s[4:5], v43, v3, s[4:5]
	v_add_co_u32_e64 v4, s[4:5], v2, v4
	v_addc_co_u32_e64 v5, s[4:5], v3, v5, s[4:5]
	;; [unrolled: 2-line block ×19, first 2 shown]
	v_add_co_u32_e64 v40, s[4:5], v38, v40
	v_add_u32_e32 v0, v46, v1
	s_waitcnt lgkmcnt(0)
	; wave barrier
	v_addc_co_u32_e64 v41, s[4:5], v39, v41, s[4:5]
	s_waitcnt lgkmcnt(0)
	; wave barrier
	ds_write2_b64 v0, v[42:43], v[2:3] offset1:1
	ds_write2_b64 v0, v[4:5], v[6:7] offset0:2 offset1:3
	ds_write2_b64 v0, v[8:9], v[10:11] offset0:4 offset1:5
	;; [unrolled: 1-line block ×9, first 2 shown]
	ds_write_b64 v0, v[40:41] offset:160
	s_waitcnt lgkmcnt(0)
	; wave barrier
	s_waitcnt lgkmcnt(0)
	ds_read2st64_b64 v[36:39], v46 offset0:1 offset1:2
	ds_read2st64_b64 v[32:35], v46 offset0:3 offset1:4
	;; [unrolled: 1-line block ×10, first 2 shown]
	v_mov_b32_e32 v41, s53
	v_add_co_u32_e64 v40, s[4:5], s52, v46
	v_addc_co_u32_e64 v41, s[4:5], 0, v41, s[4:5]
	s_and_saveexec_b64 s[4:5], vcc
	s_cbranch_execnz .LBB23_68
; %bb.47:
	s_or_b64 exec, exec, s[4:5]
	s_and_saveexec_b64 s[4:5], s[0:1]
	s_cbranch_execnz .LBB23_69
.LBB23_48:
	s_or_b64 exec, exec, s[4:5]
	s_and_saveexec_b64 s[0:1], s[2:3]
	s_cbranch_execnz .LBB23_70
.LBB23_49:
	s_or_b64 exec, exec, s[0:1]
	s_and_saveexec_b64 s[0:1], s[42:43]
	s_cbranch_execnz .LBB23_71
.LBB23_50:
	s_or_b64 exec, exec, s[0:1]
	s_and_saveexec_b64 s[0:1], s[6:7]
	s_cbranch_execnz .LBB23_72
.LBB23_51:
	s_or_b64 exec, exec, s[0:1]
	s_and_saveexec_b64 s[0:1], s[8:9]
	s_cbranch_execnz .LBB23_73
.LBB23_52:
	s_or_b64 exec, exec, s[0:1]
	s_and_saveexec_b64 s[0:1], s[10:11]
	s_cbranch_execnz .LBB23_74
.LBB23_53:
	s_or_b64 exec, exec, s[0:1]
	s_and_saveexec_b64 s[0:1], s[12:13]
	s_cbranch_execnz .LBB23_75
.LBB23_54:
	s_or_b64 exec, exec, s[0:1]
	s_and_saveexec_b64 s[0:1], s[14:15]
	s_cbranch_execnz .LBB23_76
.LBB23_55:
	s_or_b64 exec, exec, s[0:1]
	s_and_saveexec_b64 s[0:1], s[16:17]
	s_cbranch_execnz .LBB23_77
.LBB23_56:
	s_or_b64 exec, exec, s[0:1]
	s_and_saveexec_b64 s[0:1], s[18:19]
	s_cbranch_execnz .LBB23_78
.LBB23_57:
	s_or_b64 exec, exec, s[0:1]
	s_and_saveexec_b64 s[0:1], s[20:21]
	s_cbranch_execnz .LBB23_79
.LBB23_58:
	s_or_b64 exec, exec, s[0:1]
	s_and_saveexec_b64 s[0:1], s[22:23]
	s_cbranch_execnz .LBB23_80
.LBB23_59:
	s_or_b64 exec, exec, s[0:1]
	s_and_saveexec_b64 s[0:1], s[24:25]
	s_cbranch_execnz .LBB23_81
.LBB23_60:
	s_or_b64 exec, exec, s[0:1]
	s_and_saveexec_b64 s[0:1], s[26:27]
	s_cbranch_execnz .LBB23_82
.LBB23_61:
	s_or_b64 exec, exec, s[0:1]
	s_and_saveexec_b64 s[0:1], s[28:29]
	s_cbranch_execnz .LBB23_83
.LBB23_62:
	s_or_b64 exec, exec, s[0:1]
	s_and_saveexec_b64 s[0:1], s[30:31]
	s_cbranch_execnz .LBB23_84
.LBB23_63:
	s_or_b64 exec, exec, s[0:1]
	s_and_saveexec_b64 s[0:1], s[34:35]
	s_cbranch_execnz .LBB23_85
.LBB23_64:
	s_or_b64 exec, exec, s[0:1]
	s_and_saveexec_b64 s[0:1], s[36:37]
	s_cbranch_execnz .LBB23_86
.LBB23_65:
	s_or_b64 exec, exec, s[0:1]
	s_and_saveexec_b64 s[0:1], s[38:39]
	s_cbranch_execnz .LBB23_87
.LBB23_66:
	s_or_b64 exec, exec, s[0:1]
	s_and_saveexec_b64 s[0:1], s[40:41]
	s_cbranch_execnz .LBB23_88
.LBB23_67:
	s_endpgm
.LBB23_68:
	ds_read_b64 v[42:43], v46
	s_waitcnt lgkmcnt(0)
	global_store_dwordx2 v[40:41], v[42:43], off
	s_or_b64 exec, exec, s[4:5]
	s_and_saveexec_b64 s[4:5], s[0:1]
	s_cbranch_execz .LBB23_48
.LBB23_69:
	s_waitcnt lgkmcnt(9)
	global_store_dwordx2 v[40:41], v[36:37], off offset:512
	s_or_b64 exec, exec, s[4:5]
	s_and_saveexec_b64 s[0:1], s[2:3]
	s_cbranch_execz .LBB23_49
.LBB23_70:
	s_waitcnt lgkmcnt(9)
	global_store_dwordx2 v[40:41], v[38:39], off offset:1024
	s_or_b64 exec, exec, s[0:1]
	s_and_saveexec_b64 s[0:1], s[42:43]
	s_cbranch_execz .LBB23_50
.LBB23_71:
	s_waitcnt lgkmcnt(8)
	global_store_dwordx2 v[40:41], v[32:33], off offset:1536
	s_or_b64 exec, exec, s[0:1]
	s_and_saveexec_b64 s[0:1], s[6:7]
	s_cbranch_execz .LBB23_51
.LBB23_72:
	s_waitcnt lgkmcnt(8)
	global_store_dwordx2 v[40:41], v[34:35], off offset:2048
	s_or_b64 exec, exec, s[0:1]
	s_and_saveexec_b64 s[0:1], s[8:9]
	s_cbranch_execz .LBB23_52
.LBB23_73:
	s_waitcnt lgkmcnt(7)
	global_store_dwordx2 v[40:41], v[28:29], off offset:2560
	s_or_b64 exec, exec, s[0:1]
	s_and_saveexec_b64 s[0:1], s[10:11]
	s_cbranch_execz .LBB23_53
.LBB23_74:
	s_waitcnt lgkmcnt(7)
	global_store_dwordx2 v[40:41], v[30:31], off offset:3072
	s_or_b64 exec, exec, s[0:1]
	s_and_saveexec_b64 s[0:1], s[12:13]
	s_cbranch_execz .LBB23_54
.LBB23_75:
	s_waitcnt lgkmcnt(6)
	global_store_dwordx2 v[40:41], v[24:25], off offset:3584
	s_or_b64 exec, exec, s[0:1]
	s_and_saveexec_b64 s[0:1], s[14:15]
	s_cbranch_execz .LBB23_55
.LBB23_76:
	s_waitcnt lgkmcnt(6)
	v_add_co_u32_e32 v24, vcc, 0x1000, v40
	v_addc_co_u32_e32 v25, vcc, 0, v41, vcc
	global_store_dwordx2 v[24:25], v[26:27], off
	s_or_b64 exec, exec, s[0:1]
	s_and_saveexec_b64 s[0:1], s[16:17]
	s_cbranch_execz .LBB23_56
.LBB23_77:
	s_waitcnt lgkmcnt(6)
	v_add_co_u32_e32 v24, vcc, 0x1000, v40
	v_addc_co_u32_e32 v25, vcc, 0, v41, vcc
	s_waitcnt lgkmcnt(5)
	global_store_dwordx2 v[24:25], v[20:21], off offset:512
	s_or_b64 exec, exec, s[0:1]
	s_and_saveexec_b64 s[0:1], s[18:19]
	s_cbranch_execz .LBB23_57
.LBB23_78:
	s_waitcnt lgkmcnt(5)
	v_add_co_u32_e32 v20, vcc, 0x1000, v40
	v_addc_co_u32_e32 v21, vcc, 0, v41, vcc
	global_store_dwordx2 v[20:21], v[22:23], off offset:1024
	s_or_b64 exec, exec, s[0:1]
	s_and_saveexec_b64 s[0:1], s[20:21]
	s_cbranch_execz .LBB23_58
.LBB23_79:
	s_waitcnt lgkmcnt(5)
	v_add_co_u32_e32 v20, vcc, 0x1000, v40
	v_addc_co_u32_e32 v21, vcc, 0, v41, vcc
	s_waitcnt lgkmcnt(4)
	global_store_dwordx2 v[20:21], v[16:17], off offset:1536
	s_or_b64 exec, exec, s[0:1]
	s_and_saveexec_b64 s[0:1], s[22:23]
	s_cbranch_execz .LBB23_59
.LBB23_80:
	s_waitcnt lgkmcnt(4)
	v_add_co_u32_e32 v16, vcc, 0x1000, v40
	v_addc_co_u32_e32 v17, vcc, 0, v41, vcc
	global_store_dwordx2 v[16:17], v[18:19], off offset:2048
	s_or_b64 exec, exec, s[0:1]
	s_and_saveexec_b64 s[0:1], s[24:25]
	s_cbranch_execz .LBB23_60
.LBB23_81:
	s_waitcnt lgkmcnt(4)
	v_add_co_u32_e32 v16, vcc, 0x1000, v40
	v_addc_co_u32_e32 v17, vcc, 0, v41, vcc
	s_waitcnt lgkmcnt(3)
	global_store_dwordx2 v[16:17], v[12:13], off offset:2560
	s_or_b64 exec, exec, s[0:1]
	s_and_saveexec_b64 s[0:1], s[26:27]
	s_cbranch_execz .LBB23_61
.LBB23_82:
	s_waitcnt lgkmcnt(3)
	v_add_co_u32_e32 v12, vcc, 0x1000, v40
	v_addc_co_u32_e32 v13, vcc, 0, v41, vcc
	global_store_dwordx2 v[12:13], v[14:15], off offset:3072
	s_or_b64 exec, exec, s[0:1]
	s_and_saveexec_b64 s[0:1], s[28:29]
	s_cbranch_execz .LBB23_62
.LBB23_83:
	s_waitcnt lgkmcnt(3)
	v_add_co_u32_e32 v12, vcc, 0x1000, v40
	v_addc_co_u32_e32 v13, vcc, 0, v41, vcc
	s_waitcnt lgkmcnt(2)
	global_store_dwordx2 v[12:13], v[8:9], off offset:3584
	s_or_b64 exec, exec, s[0:1]
	s_and_saveexec_b64 s[0:1], s[30:31]
	s_cbranch_execz .LBB23_63
.LBB23_84:
	s_waitcnt lgkmcnt(2)
	v_add_co_u32_e32 v8, vcc, 0x2000, v40
	v_addc_co_u32_e32 v9, vcc, 0, v41, vcc
	global_store_dwordx2 v[8:9], v[10:11], off
	s_or_b64 exec, exec, s[0:1]
	s_and_saveexec_b64 s[0:1], s[34:35]
	s_cbranch_execz .LBB23_64
.LBB23_85:
	s_waitcnt lgkmcnt(2)
	v_add_co_u32_e32 v8, vcc, 0x2000, v40
	v_addc_co_u32_e32 v9, vcc, 0, v41, vcc
	s_waitcnt lgkmcnt(1)
	global_store_dwordx2 v[8:9], v[4:5], off offset:512
	s_or_b64 exec, exec, s[0:1]
	s_and_saveexec_b64 s[0:1], s[36:37]
	s_cbranch_execz .LBB23_65
.LBB23_86:
	s_waitcnt lgkmcnt(1)
	v_add_co_u32_e32 v4, vcc, 0x2000, v40
	v_addc_co_u32_e32 v5, vcc, 0, v41, vcc
	global_store_dwordx2 v[4:5], v[6:7], off offset:1024
	s_or_b64 exec, exec, s[0:1]
	s_and_saveexec_b64 s[0:1], s[38:39]
	s_cbranch_execz .LBB23_66
.LBB23_87:
	s_waitcnt lgkmcnt(1)
	v_add_co_u32_e32 v4, vcc, 0x2000, v40
	v_addc_co_u32_e32 v5, vcc, 0, v41, vcc
	s_waitcnt lgkmcnt(0)
	global_store_dwordx2 v[4:5], v[0:1], off offset:1536
	s_or_b64 exec, exec, s[0:1]
	s_and_saveexec_b64 s[0:1], s[40:41]
	s_cbranch_execz .LBB23_67
.LBB23_88:
	s_waitcnt lgkmcnt(0)
	v_add_co_u32_e32 v0, vcc, 0x2000, v40
	v_addc_co_u32_e32 v1, vcc, 0, v41, vcc
	global_store_dwordx2 v[0:1], v[2:3], off offset:2048
	s_endpgm
	.section	.rodata,"a",@progbits
	.p2align	6, 0x0
	.amdhsa_kernel _ZN7rocprim17ROCPRIM_304000_NS6detail18single_scan_kernelILb1ENS1_19wrapped_scan_configINS0_14default_configElEEN6hipcub22TransformInputIteratorIbN2at4cuda3cub12_GLOBAL__N_111CountMaskOpEPKhlEEPlNSB_5SumOpIlEEllEEvT1_mT4_T2_T3_
		.amdhsa_group_segment_fixed_size 10752
		.amdhsa_private_segment_fixed_size 0
		.amdhsa_kernarg_size 44
		.amdhsa_user_sgpr_count 6
		.amdhsa_user_sgpr_private_segment_buffer 1
		.amdhsa_user_sgpr_dispatch_ptr 0
		.amdhsa_user_sgpr_queue_ptr 0
		.amdhsa_user_sgpr_kernarg_segment_ptr 1
		.amdhsa_user_sgpr_dispatch_id 0
		.amdhsa_user_sgpr_flat_scratch_init 0
		.amdhsa_user_sgpr_kernarg_preload_length 0
		.amdhsa_user_sgpr_kernarg_preload_offset 0
		.amdhsa_user_sgpr_private_segment_size 0
		.amdhsa_uses_dynamic_stack 0
		.amdhsa_system_sgpr_private_segment_wavefront_offset 0
		.amdhsa_system_sgpr_workgroup_id_x 1
		.amdhsa_system_sgpr_workgroup_id_y 0
		.amdhsa_system_sgpr_workgroup_id_z 0
		.amdhsa_system_sgpr_workgroup_info 0
		.amdhsa_system_vgpr_workitem_id 0
		.amdhsa_next_free_vgpr 52
		.amdhsa_next_free_sgpr 54
		.amdhsa_accum_offset 52
		.amdhsa_reserve_vcc 1
		.amdhsa_reserve_flat_scratch 0
		.amdhsa_float_round_mode_32 0
		.amdhsa_float_round_mode_16_64 0
		.amdhsa_float_denorm_mode_32 3
		.amdhsa_float_denorm_mode_16_64 3
		.amdhsa_dx10_clamp 1
		.amdhsa_ieee_mode 1
		.amdhsa_fp16_overflow 0
		.amdhsa_tg_split 0
		.amdhsa_exception_fp_ieee_invalid_op 0
		.amdhsa_exception_fp_denorm_src 0
		.amdhsa_exception_fp_ieee_div_zero 0
		.amdhsa_exception_fp_ieee_overflow 0
		.amdhsa_exception_fp_ieee_underflow 0
		.amdhsa_exception_fp_ieee_inexact 0
		.amdhsa_exception_int_div_zero 0
	.end_amdhsa_kernel
	.section	.text._ZN7rocprim17ROCPRIM_304000_NS6detail18single_scan_kernelILb1ENS1_19wrapped_scan_configINS0_14default_configElEEN6hipcub22TransformInputIteratorIbN2at4cuda3cub12_GLOBAL__N_111CountMaskOpEPKhlEEPlNSB_5SumOpIlEEllEEvT1_mT4_T2_T3_,"axG",@progbits,_ZN7rocprim17ROCPRIM_304000_NS6detail18single_scan_kernelILb1ENS1_19wrapped_scan_configINS0_14default_configElEEN6hipcub22TransformInputIteratorIbN2at4cuda3cub12_GLOBAL__N_111CountMaskOpEPKhlEEPlNSB_5SumOpIlEEllEEvT1_mT4_T2_T3_,comdat
.Lfunc_end23:
	.size	_ZN7rocprim17ROCPRIM_304000_NS6detail18single_scan_kernelILb1ENS1_19wrapped_scan_configINS0_14default_configElEEN6hipcub22TransformInputIteratorIbN2at4cuda3cub12_GLOBAL__N_111CountMaskOpEPKhlEEPlNSB_5SumOpIlEEllEEvT1_mT4_T2_T3_, .Lfunc_end23-_ZN7rocprim17ROCPRIM_304000_NS6detail18single_scan_kernelILb1ENS1_19wrapped_scan_configINS0_14default_configElEEN6hipcub22TransformInputIteratorIbN2at4cuda3cub12_GLOBAL__N_111CountMaskOpEPKhlEEPlNSB_5SumOpIlEEllEEvT1_mT4_T2_T3_
                                        ; -- End function
	.section	.AMDGPU.csdata,"",@progbits
; Kernel info:
; codeLenInByte = 4192
; NumSgprs: 58
; NumVgprs: 52
; NumAgprs: 0
; TotalNumVgprs: 52
; ScratchSize: 0
; MemoryBound: 0
; FloatMode: 240
; IeeeMode: 1
; LDSByteSize: 10752 bytes/workgroup (compile time only)
; SGPRBlocks: 7
; VGPRBlocks: 6
; NumSGPRsForWavesPerEU: 58
; NumVGPRsForWavesPerEU: 52
; AccumOffset: 52
; Occupancy: 2
; WaveLimiterHint : 0
; COMPUTE_PGM_RSRC2:SCRATCH_EN: 0
; COMPUTE_PGM_RSRC2:USER_SGPR: 6
; COMPUTE_PGM_RSRC2:TRAP_HANDLER: 0
; COMPUTE_PGM_RSRC2:TGID_X_EN: 1
; COMPUTE_PGM_RSRC2:TGID_Y_EN: 0
; COMPUTE_PGM_RSRC2:TGID_Z_EN: 0
; COMPUTE_PGM_RSRC2:TIDIG_COMP_CNT: 0
; COMPUTE_PGM_RSRC3_GFX90A:ACCUM_OFFSET: 12
; COMPUTE_PGM_RSRC3_GFX90A:TG_SPLIT: 0
	.text
	.p2alignl 6, 3212836864
	.fill 256, 4, 3212836864
	.type	__hip_cuid_5c9790e7a29f5231,@object ; @__hip_cuid_5c9790e7a29f5231
	.section	.bss,"aw",@nobits
	.globl	__hip_cuid_5c9790e7a29f5231
__hip_cuid_5c9790e7a29f5231:
	.byte	0                               ; 0x0
	.size	__hip_cuid_5c9790e7a29f5231, 1

	.ident	"AMD clang version 19.0.0git (https://github.com/RadeonOpenCompute/llvm-project roc-6.4.0 25133 c7fe45cf4b819c5991fe208aaa96edf142730f1d)"
	.section	".note.GNU-stack","",@progbits
	.addrsig
	.addrsig_sym __hip_cuid_5c9790e7a29f5231
	.amdgpu_metadata
---
amdhsa.kernels:
  - .agpr_count:     0
    .args:
      - .address_space:  global
        .offset:         0
        .size:           8
        .value_kind:     global_buffer
      - .offset:         8
        .size:           4
        .value_kind:     by_value
      - .offset:         12
        .size:           4
        .value_kind:     by_value
      - .address_space:  global
        .offset:         16
        .size:           8
        .value_kind:     global_buffer
      - .offset:         24
        .size:           4
        .value_kind:     hidden_block_count_x
      - .offset:         28
        .size:           4
        .value_kind:     hidden_block_count_y
      - .offset:         32
        .size:           4
        .value_kind:     hidden_block_count_z
      - .offset:         36
        .size:           2
        .value_kind:     hidden_group_size_x
      - .offset:         38
        .size:           2
        .value_kind:     hidden_group_size_y
      - .offset:         40
        .size:           2
        .value_kind:     hidden_group_size_z
      - .offset:         42
        .size:           2
        .value_kind:     hidden_remainder_x
      - .offset:         44
        .size:           2
        .value_kind:     hidden_remainder_y
      - .offset:         46
        .size:           2
        .value_kind:     hidden_remainder_z
      - .offset:         64
        .size:           8
        .value_kind:     hidden_global_offset_x
      - .offset:         72
        .size:           8
        .value_kind:     hidden_global_offset_y
      - .offset:         80
        .size:           8
        .value_kind:     hidden_global_offset_z
      - .offset:         88
        .size:           2
        .value_kind:     hidden_grid_dims
    .group_segment_fixed_size: 0
    .kernarg_segment_align: 8
    .kernarg_segment_size: 280
    .language:       OpenCL C
    .language_version:
      - 2
      - 0
    .max_flat_workgroup_size: 256
    .name:           _ZN7rocprim17ROCPRIM_304000_NS6detail31init_lookback_scan_state_kernelINS1_19lookback_scan_stateIiLb1ELb1EEEEEvT_jjPNS5_10value_typeE
    .private_segment_fixed_size: 0
    .sgpr_count:     16
    .sgpr_spill_count: 0
    .symbol:         _ZN7rocprim17ROCPRIM_304000_NS6detail31init_lookback_scan_state_kernelINS1_19lookback_scan_stateIiLb1ELb1EEEEEvT_jjPNS5_10value_typeE.kd
    .uniform_work_group_size: 1
    .uses_dynamic_stack: false
    .vgpr_count:     6
    .vgpr_spill_count: 0
    .wavefront_size: 64
  - .agpr_count:     0
    .args:
      - .address_space:  global
        .offset:         0
        .size:           8
        .value_kind:     global_buffer
      - .offset:         8
        .size:           4
        .value_kind:     by_value
      - .offset:         12
        .size:           4
        .value_kind:     by_value
      - .address_space:  global
        .offset:         16
        .size:           8
        .value_kind:     global_buffer
      - .offset:         24
        .size:           4
        .value_kind:     hidden_block_count_x
      - .offset:         28
        .size:           4
        .value_kind:     hidden_block_count_y
      - .offset:         32
        .size:           4
        .value_kind:     hidden_block_count_z
      - .offset:         36
        .size:           2
        .value_kind:     hidden_group_size_x
      - .offset:         38
        .size:           2
        .value_kind:     hidden_group_size_y
      - .offset:         40
        .size:           2
        .value_kind:     hidden_group_size_z
      - .offset:         42
        .size:           2
        .value_kind:     hidden_remainder_x
      - .offset:         44
        .size:           2
        .value_kind:     hidden_remainder_y
      - .offset:         46
        .size:           2
        .value_kind:     hidden_remainder_z
      - .offset:         64
        .size:           8
        .value_kind:     hidden_global_offset_x
      - .offset:         72
        .size:           8
        .value_kind:     hidden_global_offset_y
      - .offset:         80
        .size:           8
        .value_kind:     hidden_global_offset_z
      - .offset:         88
        .size:           2
        .value_kind:     hidden_grid_dims
    .group_segment_fixed_size: 0
    .kernarg_segment_align: 8
    .kernarg_segment_size: 280
    .language:       OpenCL C
    .language_version:
      - 2
      - 0
    .max_flat_workgroup_size: 256
    .name:           _ZN7rocprim17ROCPRIM_304000_NS6detail31init_lookback_scan_state_kernelINS1_19lookback_scan_stateIiLb0ELb1EEEEEvT_jjPNS5_10value_typeE
    .private_segment_fixed_size: 0
    .sgpr_count:     14
    .sgpr_spill_count: 0
    .symbol:         _ZN7rocprim17ROCPRIM_304000_NS6detail31init_lookback_scan_state_kernelINS1_19lookback_scan_stateIiLb0ELb1EEEEEvT_jjPNS5_10value_typeE.kd
    .uniform_work_group_size: 1
    .uses_dynamic_stack: false
    .vgpr_count:     6
    .vgpr_spill_count: 0
    .wavefront_size: 64
  - .agpr_count:     0
    .args:
      - .address_space:  global
        .offset:         0
        .size:           8
        .value_kind:     global_buffer
      - .address_space:  global
        .offset:         8
        .size:           8
        .value_kind:     global_buffer
      - .offset:         16
        .size:           8
        .value_kind:     by_value
      - .offset:         24
        .size:           4
        .value_kind:     by_value
      - .offset:         28
        .size:           1
        .value_kind:     by_value
      - .address_space:  global
        .offset:         32
        .size:           8
        .value_kind:     global_buffer
      - .offset:         40
        .size:           4
        .value_kind:     by_value
      - .address_space:  global
        .offset:         48
        .size:           8
        .value_kind:     global_buffer
      - .address_space:  global
        .offset:         56
        .size:           8
        .value_kind:     global_buffer
      - .offset:         64
        .size:           1
        .value_kind:     by_value
      - .offset:         65
        .size:           1
        .value_kind:     by_value
    .group_segment_fixed_size: 0
    .kernarg_segment_align: 8
    .kernarg_segment_size: 68
    .language:       OpenCL C
    .language_version:
      - 2
      - 0
    .max_flat_workgroup_size: 128
    .name:           _ZN7rocprim17ROCPRIM_304000_NS6detail20lookback_scan_kernelILNS1_25lookback_scan_determinismE0ELb0ENS1_19wrapped_scan_configINS0_14default_configEiEEPKiPiSt4plusIvEiiNS1_19lookback_scan_stateIiLb1ELb1EEEEEvT2_T3_mT5_T4_T7_jPT6_SK_bb
    .private_segment_fixed_size: 0
    .sgpr_count:     4
    .sgpr_spill_count: 0
    .symbol:         _ZN7rocprim17ROCPRIM_304000_NS6detail20lookback_scan_kernelILNS1_25lookback_scan_determinismE0ELb0ENS1_19wrapped_scan_configINS0_14default_configEiEEPKiPiSt4plusIvEiiNS1_19lookback_scan_stateIiLb1ELb1EEEEEvT2_T3_mT5_T4_T7_jPT6_SK_bb.kd
    .uniform_work_group_size: 1
    .uses_dynamic_stack: false
    .vgpr_count:     0
    .vgpr_spill_count: 0
    .wavefront_size: 64
  - .agpr_count:     0
    .args:
      - .address_space:  global
        .offset:         0
        .size:           8
        .value_kind:     global_buffer
      - .address_space:  global
        .offset:         8
        .size:           8
        .value_kind:     global_buffer
      - .offset:         16
        .size:           8
        .value_kind:     by_value
      - .offset:         24
        .size:           4
        .value_kind:     by_value
      - .offset:         28
        .size:           1
        .value_kind:     by_value
      - .address_space:  global
        .offset:         32
        .size:           8
        .value_kind:     global_buffer
      - .offset:         40
        .size:           4
        .value_kind:     by_value
      - .address_space:  global
        .offset:         48
        .size:           8
        .value_kind:     global_buffer
      - .address_space:  global
        .offset:         56
        .size:           8
        .value_kind:     global_buffer
      - .offset:         64
        .size:           1
        .value_kind:     by_value
      - .offset:         65
        .size:           1
        .value_kind:     by_value
    .group_segment_fixed_size: 5120
    .kernarg_segment_align: 8
    .kernarg_segment_size: 68
    .language:       OpenCL C
    .language_version:
      - 2
      - 0
    .max_flat_workgroup_size: 128
    .name:           _ZN7rocprim17ROCPRIM_304000_NS6detail20lookback_scan_kernelILNS1_25lookback_scan_determinismE0ELb0ENS1_19wrapped_scan_configINS0_14default_configEiEEPKiPiSt4plusIvEiiNS1_19lookback_scan_stateIiLb0ELb1EEEEEvT2_T3_mT5_T4_T7_jPT6_SK_bb
    .private_segment_fixed_size: 0
    .sgpr_count:     30
    .sgpr_spill_count: 0
    .symbol:         _ZN7rocprim17ROCPRIM_304000_NS6detail20lookback_scan_kernelILNS1_25lookback_scan_determinismE0ELb0ENS1_19wrapped_scan_configINS0_14default_configEiEEPKiPiSt4plusIvEiiNS1_19lookback_scan_stateIiLb0ELb1EEEEEvT2_T3_mT5_T4_T7_jPT6_SK_bb.kd
    .uniform_work_group_size: 1
    .uses_dynamic_stack: false
    .vgpr_count:     40
    .vgpr_spill_count: 0
    .wavefront_size: 64
  - .agpr_count:     0
    .args:
      - .address_space:  global
        .offset:         0
        .size:           8
        .value_kind:     global_buffer
      - .offset:         8
        .size:           8
        .value_kind:     by_value
      - .address_space:  global
        .offset:         16
        .size:           8
        .value_kind:     global_buffer
      - .offset:         24
        .size:           1
        .value_kind:     by_value
      - .offset:         32
        .size:           4
        .value_kind:     hidden_block_count_x
      - .offset:         36
        .size:           4
        .value_kind:     hidden_block_count_y
      - .offset:         40
        .size:           4
        .value_kind:     hidden_block_count_z
      - .offset:         44
        .size:           2
        .value_kind:     hidden_group_size_x
      - .offset:         46
        .size:           2
        .value_kind:     hidden_group_size_y
      - .offset:         48
        .size:           2
        .value_kind:     hidden_group_size_z
      - .offset:         50
        .size:           2
        .value_kind:     hidden_remainder_x
      - .offset:         52
        .size:           2
        .value_kind:     hidden_remainder_y
      - .offset:         54
        .size:           2
        .value_kind:     hidden_remainder_z
      - .offset:         72
        .size:           8
        .value_kind:     hidden_global_offset_x
      - .offset:         80
        .size:           8
        .value_kind:     hidden_global_offset_y
      - .offset:         88
        .size:           8
        .value_kind:     hidden_global_offset_z
      - .offset:         96
        .size:           2
        .value_kind:     hidden_grid_dims
    .group_segment_fixed_size: 0
    .kernarg_segment_align: 8
    .kernarg_segment_size: 288
    .language:       OpenCL C
    .language_version:
      - 2
      - 0
    .max_flat_workgroup_size: 1024
    .name:           _ZN7rocprim17ROCPRIM_304000_NS6detail16transform_kernelINS1_24wrapped_transform_configINS0_14default_configEiEEiPiS6_NS0_8identityIiEEEEvT1_mT2_T3_
    .private_segment_fixed_size: 0
    .sgpr_count:     16
    .sgpr_spill_count: 0
    .symbol:         _ZN7rocprim17ROCPRIM_304000_NS6detail16transform_kernelINS1_24wrapped_transform_configINS0_14default_configEiEEiPiS6_NS0_8identityIiEEEEvT1_mT2_T3_.kd
    .uniform_work_group_size: 1
    .uses_dynamic_stack: false
    .vgpr_count:     7
    .vgpr_spill_count: 0
    .wavefront_size: 64
  - .agpr_count:     0
    .args:
      - .address_space:  global
        .offset:         0
        .size:           8
        .value_kind:     global_buffer
      - .offset:         8
        .size:           8
        .value_kind:     by_value
      - .offset:         16
        .size:           4
        .value_kind:     by_value
      - .address_space:  global
        .offset:         24
        .size:           8
        .value_kind:     global_buffer
      - .offset:         32
        .size:           1
        .value_kind:     by_value
    .group_segment_fixed_size: 5120
    .kernarg_segment_align: 8
    .kernarg_segment_size: 36
    .language:       OpenCL C
    .language_version:
      - 2
      - 0
    .max_flat_workgroup_size: 128
    .name:           _ZN7rocprim17ROCPRIM_304000_NS6detail18single_scan_kernelILb0ENS1_19wrapped_scan_configINS0_14default_configEiEEPKiPiSt4plusIvEiiEEvT1_mT4_T2_T3_
    .private_segment_fixed_size: 0
    .sgpr_count:     28
    .sgpr_spill_count: 0
    .symbol:         _ZN7rocprim17ROCPRIM_304000_NS6detail18single_scan_kernelILb0ENS1_19wrapped_scan_configINS0_14default_configEiEEPKiPiSt4plusIvEiiEEvT1_mT4_T2_T3_.kd
    .uniform_work_group_size: 1
    .uses_dynamic_stack: false
    .vgpr_count:     20
    .vgpr_spill_count: 0
    .wavefront_size: 64
  - .agpr_count:     0
    .args:
      - .address_space:  global
        .offset:         0
        .size:           8
        .value_kind:     global_buffer
      - .offset:         8
        .size:           4
        .value_kind:     by_value
      - .offset:         12
        .size:           4
        .value_kind:     by_value
      - .address_space:  global
        .offset:         16
        .size:           8
        .value_kind:     global_buffer
      - .offset:         24
        .size:           4
        .value_kind:     hidden_block_count_x
      - .offset:         28
        .size:           4
        .value_kind:     hidden_block_count_y
      - .offset:         32
        .size:           4
        .value_kind:     hidden_block_count_z
      - .offset:         36
        .size:           2
        .value_kind:     hidden_group_size_x
      - .offset:         38
        .size:           2
        .value_kind:     hidden_group_size_y
      - .offset:         40
        .size:           2
        .value_kind:     hidden_group_size_z
      - .offset:         42
        .size:           2
        .value_kind:     hidden_remainder_x
      - .offset:         44
        .size:           2
        .value_kind:     hidden_remainder_y
      - .offset:         46
        .size:           2
        .value_kind:     hidden_remainder_z
      - .offset:         64
        .size:           8
        .value_kind:     hidden_global_offset_x
      - .offset:         72
        .size:           8
        .value_kind:     hidden_global_offset_y
      - .offset:         80
        .size:           8
        .value_kind:     hidden_global_offset_z
      - .offset:         88
        .size:           2
        .value_kind:     hidden_grid_dims
    .group_segment_fixed_size: 0
    .kernarg_segment_align: 8
    .kernarg_segment_size: 280
    .language:       OpenCL C
    .language_version:
      - 2
      - 0
    .max_flat_workgroup_size: 256
    .name:           _ZN7rocprim17ROCPRIM_304000_NS6detail31init_lookback_scan_state_kernelINS1_19lookback_scan_stateIlLb1ELb1EEEEEvT_jjPNS5_10value_typeE
    .private_segment_fixed_size: 0
    .sgpr_count:     18
    .sgpr_spill_count: 0
    .symbol:         _ZN7rocprim17ROCPRIM_304000_NS6detail31init_lookback_scan_state_kernelINS1_19lookback_scan_stateIlLb1ELb1EEEEEvT_jjPNS5_10value_typeE.kd
    .uniform_work_group_size: 1
    .uses_dynamic_stack: false
    .vgpr_count:     10
    .vgpr_spill_count: 0
    .wavefront_size: 64
  - .agpr_count:     0
    .args:
      - .address_space:  global
        .offset:         0
        .size:           8
        .value_kind:     global_buffer
      - .offset:         8
        .size:           4
        .value_kind:     by_value
      - .offset:         12
        .size:           4
        .value_kind:     by_value
      - .address_space:  global
        .offset:         16
        .size:           8
        .value_kind:     global_buffer
      - .offset:         24
        .size:           4
        .value_kind:     hidden_block_count_x
      - .offset:         28
        .size:           4
        .value_kind:     hidden_block_count_y
      - .offset:         32
        .size:           4
        .value_kind:     hidden_block_count_z
      - .offset:         36
        .size:           2
        .value_kind:     hidden_group_size_x
      - .offset:         38
        .size:           2
        .value_kind:     hidden_group_size_y
      - .offset:         40
        .size:           2
        .value_kind:     hidden_group_size_z
      - .offset:         42
        .size:           2
        .value_kind:     hidden_remainder_x
      - .offset:         44
        .size:           2
        .value_kind:     hidden_remainder_y
      - .offset:         46
        .size:           2
        .value_kind:     hidden_remainder_z
      - .offset:         64
        .size:           8
        .value_kind:     hidden_global_offset_x
      - .offset:         72
        .size:           8
        .value_kind:     hidden_global_offset_y
      - .offset:         80
        .size:           8
        .value_kind:     hidden_global_offset_z
      - .offset:         88
        .size:           2
        .value_kind:     hidden_grid_dims
    .group_segment_fixed_size: 0
    .kernarg_segment_align: 8
    .kernarg_segment_size: 280
    .language:       OpenCL C
    .language_version:
      - 2
      - 0
    .max_flat_workgroup_size: 256
    .name:           _ZN7rocprim17ROCPRIM_304000_NS6detail31init_lookback_scan_state_kernelINS1_19lookback_scan_stateIlLb0ELb1EEEEEvT_jjPNS5_10value_typeE
    .private_segment_fixed_size: 0
    .sgpr_count:     18
    .sgpr_spill_count: 0
    .symbol:         _ZN7rocprim17ROCPRIM_304000_NS6detail31init_lookback_scan_state_kernelINS1_19lookback_scan_stateIlLb0ELb1EEEEEvT_jjPNS5_10value_typeE.kd
    .uniform_work_group_size: 1
    .uses_dynamic_stack: false
    .vgpr_count:     10
    .vgpr_spill_count: 0
    .wavefront_size: 64
  - .agpr_count:     0
    .args:
      - .address_space:  global
        .offset:         0
        .size:           8
        .value_kind:     global_buffer
      - .address_space:  global
        .offset:         8
        .size:           8
        .value_kind:     global_buffer
      - .offset:         16
        .size:           8
        .value_kind:     by_value
      - .offset:         24
        .size:           8
        .value_kind:     by_value
      - .offset:         32
        .size:           1
        .value_kind:     by_value
      - .address_space:  global
        .offset:         40
        .size:           8
        .value_kind:     global_buffer
      - .offset:         48
        .size:           4
        .value_kind:     by_value
      - .address_space:  global
        .offset:         56
        .size:           8
        .value_kind:     global_buffer
      - .address_space:  global
        .offset:         64
        .size:           8
        .value_kind:     global_buffer
      - .offset:         72
        .size:           1
        .value_kind:     by_value
      - .offset:         73
        .size:           1
        .value_kind:     by_value
    .group_segment_fixed_size: 0
    .kernarg_segment_align: 8
    .kernarg_segment_size: 76
    .language:       OpenCL C
    .language_version:
      - 2
      - 0
    .max_flat_workgroup_size: 64
    .name:           _ZN7rocprim17ROCPRIM_304000_NS6detail20lookback_scan_kernelILNS1_25lookback_scan_determinismE0ELb0ENS1_19wrapped_scan_configINS0_14default_configElEEPKlPlSt4plusIvEllNS1_19lookback_scan_stateIlLb1ELb1EEEEEvT2_T3_mT5_T4_T7_jPT6_SK_bb
    .private_segment_fixed_size: 0
    .sgpr_count:     4
    .sgpr_spill_count: 0
    .symbol:         _ZN7rocprim17ROCPRIM_304000_NS6detail20lookback_scan_kernelILNS1_25lookback_scan_determinismE0ELb0ENS1_19wrapped_scan_configINS0_14default_configElEEPKlPlSt4plusIvEllNS1_19lookback_scan_stateIlLb1ELb1EEEEEvT2_T3_mT5_T4_T7_jPT6_SK_bb.kd
    .uniform_work_group_size: 1
    .uses_dynamic_stack: false
    .vgpr_count:     0
    .vgpr_spill_count: 0
    .wavefront_size: 64
  - .agpr_count:     0
    .args:
      - .address_space:  global
        .offset:         0
        .size:           8
        .value_kind:     global_buffer
      - .address_space:  global
        .offset:         8
        .size:           8
        .value_kind:     global_buffer
      - .offset:         16
        .size:           8
        .value_kind:     by_value
      - .offset:         24
        .size:           8
        .value_kind:     by_value
      - .offset:         32
        .size:           1
        .value_kind:     by_value
      - .address_space:  global
        .offset:         40
        .size:           8
        .value_kind:     global_buffer
      - .offset:         48
        .size:           4
        .value_kind:     by_value
      - .address_space:  global
        .offset:         56
        .size:           8
        .value_kind:     global_buffer
      - .address_space:  global
        .offset:         64
        .size:           8
        .value_kind:     global_buffer
      - .offset:         72
        .size:           1
        .value_kind:     by_value
      - .offset:         73
        .size:           1
        .value_kind:     by_value
    .group_segment_fixed_size: 10752
    .kernarg_segment_align: 8
    .kernarg_segment_size: 76
    .language:       OpenCL C
    .language_version:
      - 2
      - 0
    .max_flat_workgroup_size: 64
    .name:           _ZN7rocprim17ROCPRIM_304000_NS6detail20lookback_scan_kernelILNS1_25lookback_scan_determinismE0ELb0ENS1_19wrapped_scan_configINS0_14default_configElEEPKlPlSt4plusIvEllNS1_19lookback_scan_stateIlLb0ELb1EEEEEvT2_T3_mT5_T4_T7_jPT6_SK_bb
    .private_segment_fixed_size: 0
    .sgpr_count:     28
    .sgpr_spill_count: 0
    .symbol:         _ZN7rocprim17ROCPRIM_304000_NS6detail20lookback_scan_kernelILNS1_25lookback_scan_determinismE0ELb0ENS1_19wrapped_scan_configINS0_14default_configElEEPKlPlSt4plusIvEllNS1_19lookback_scan_stateIlLb0ELb1EEEEEvT2_T3_mT5_T4_T7_jPT6_SK_bb.kd
    .uniform_work_group_size: 1
    .uses_dynamic_stack: false
    .vgpr_count:     89
    .vgpr_spill_count: 0
    .wavefront_size: 64
  - .agpr_count:     0
    .args:
      - .address_space:  global
        .offset:         0
        .size:           8
        .value_kind:     global_buffer
      - .offset:         8
        .size:           8
        .value_kind:     by_value
      - .address_space:  global
        .offset:         16
        .size:           8
        .value_kind:     global_buffer
      - .offset:         24
        .size:           1
        .value_kind:     by_value
      - .offset:         32
        .size:           4
        .value_kind:     hidden_block_count_x
      - .offset:         36
        .size:           4
        .value_kind:     hidden_block_count_y
      - .offset:         40
        .size:           4
        .value_kind:     hidden_block_count_z
      - .offset:         44
        .size:           2
        .value_kind:     hidden_group_size_x
      - .offset:         46
        .size:           2
        .value_kind:     hidden_group_size_y
      - .offset:         48
        .size:           2
        .value_kind:     hidden_group_size_z
      - .offset:         50
        .size:           2
        .value_kind:     hidden_remainder_x
      - .offset:         52
        .size:           2
        .value_kind:     hidden_remainder_y
      - .offset:         54
        .size:           2
        .value_kind:     hidden_remainder_z
      - .offset:         72
        .size:           8
        .value_kind:     hidden_global_offset_x
      - .offset:         80
        .size:           8
        .value_kind:     hidden_global_offset_y
      - .offset:         88
        .size:           8
        .value_kind:     hidden_global_offset_z
      - .offset:         96
        .size:           2
        .value_kind:     hidden_grid_dims
    .group_segment_fixed_size: 0
    .kernarg_segment_align: 8
    .kernarg_segment_size: 288
    .language:       OpenCL C
    .language_version:
      - 2
      - 0
    .max_flat_workgroup_size: 256
    .name:           _ZN7rocprim17ROCPRIM_304000_NS6detail16transform_kernelINS1_24wrapped_transform_configINS0_14default_configElEElPlS6_NS0_8identityIlEEEEvT1_mT2_T3_
    .private_segment_fixed_size: 0
    .sgpr_count:     16
    .sgpr_spill_count: 0
    .symbol:         _ZN7rocprim17ROCPRIM_304000_NS6detail16transform_kernelINS1_24wrapped_transform_configINS0_14default_configElEElPlS6_NS0_8identityIlEEEEvT1_mT2_T3_.kd
    .uniform_work_group_size: 1
    .uses_dynamic_stack: false
    .vgpr_count:     8
    .vgpr_spill_count: 0
    .wavefront_size: 64
  - .agpr_count:     0
    .args:
      - .address_space:  global
        .offset:         0
        .size:           8
        .value_kind:     global_buffer
      - .offset:         8
        .size:           8
        .value_kind:     by_value
      - .offset:         16
        .size:           8
        .value_kind:     by_value
      - .address_space:  global
        .offset:         24
        .size:           8
        .value_kind:     global_buffer
      - .offset:         32
        .size:           1
        .value_kind:     by_value
    .group_segment_fixed_size: 10752
    .kernarg_segment_align: 8
    .kernarg_segment_size: 36
    .language:       OpenCL C
    .language_version:
      - 2
      - 0
    .max_flat_workgroup_size: 64
    .name:           _ZN7rocprim17ROCPRIM_304000_NS6detail18single_scan_kernelILb0ENS1_19wrapped_scan_configINS0_14default_configElEEPKlPlSt4plusIvEllEEvT1_mT4_T2_T3_
    .private_segment_fixed_size: 0
    .sgpr_count:     54
    .sgpr_spill_count: 0
    .symbol:         _ZN7rocprim17ROCPRIM_304000_NS6detail18single_scan_kernelILb0ENS1_19wrapped_scan_configINS0_14default_configElEEPKlPlSt4plusIvEllEEvT1_mT4_T2_T3_.kd
    .uniform_work_group_size: 1
    .uses_dynamic_stack: false
    .vgpr_count:     54
    .vgpr_spill_count: 0
    .wavefront_size: 64
  - .agpr_count:     0
    .args:
      - .address_space:  global
        .offset:         0
        .size:           8
        .value_kind:     global_buffer
      - .address_space:  global
        .offset:         8
        .size:           8
        .value_kind:     global_buffer
      - .offset:         16
        .size:           8
        .value_kind:     by_value
      - .offset:         24
        .size:           4
        .value_kind:     by_value
      - .offset:         28
        .size:           1
        .value_kind:     by_value
      - .address_space:  global
        .offset:         32
        .size:           8
        .value_kind:     global_buffer
      - .offset:         40
        .size:           4
        .value_kind:     by_value
      - .address_space:  global
        .offset:         48
        .size:           8
        .value_kind:     global_buffer
      - .address_space:  global
        .offset:         56
        .size:           8
        .value_kind:     global_buffer
      - .offset:         64
        .size:           1
        .value_kind:     by_value
      - .offset:         65
        .size:           1
        .value_kind:     by_value
    .group_segment_fixed_size: 0
    .kernarg_segment_align: 8
    .kernarg_segment_size: 68
    .language:       OpenCL C
    .language_version:
      - 2
      - 0
    .max_flat_workgroup_size: 128
    .name:           _ZN7rocprim17ROCPRIM_304000_NS6detail20lookback_scan_kernelILNS1_25lookback_scan_determinismE0ELb0ENS1_19wrapped_scan_configINS0_14default_configEiEEPKiPlSt4plusIvEiiNS1_19lookback_scan_stateIiLb1ELb1EEEEEvT2_T3_mT5_T4_T7_jPT6_SK_bb
    .private_segment_fixed_size: 0
    .sgpr_count:     4
    .sgpr_spill_count: 0
    .symbol:         _ZN7rocprim17ROCPRIM_304000_NS6detail20lookback_scan_kernelILNS1_25lookback_scan_determinismE0ELb0ENS1_19wrapped_scan_configINS0_14default_configEiEEPKiPlSt4plusIvEiiNS1_19lookback_scan_stateIiLb1ELb1EEEEEvT2_T3_mT5_T4_T7_jPT6_SK_bb.kd
    .uniform_work_group_size: 1
    .uses_dynamic_stack: false
    .vgpr_count:     0
    .vgpr_spill_count: 0
    .wavefront_size: 64
  - .agpr_count:     0
    .args:
      - .address_space:  global
        .offset:         0
        .size:           8
        .value_kind:     global_buffer
      - .address_space:  global
        .offset:         8
        .size:           8
        .value_kind:     global_buffer
      - .offset:         16
        .size:           8
        .value_kind:     by_value
      - .offset:         24
        .size:           4
        .value_kind:     by_value
      - .offset:         28
        .size:           1
        .value_kind:     by_value
      - .address_space:  global
        .offset:         32
        .size:           8
        .value_kind:     global_buffer
      - .offset:         40
        .size:           4
        .value_kind:     by_value
      - .address_space:  global
        .offset:         48
        .size:           8
        .value_kind:     global_buffer
      - .address_space:  global
        .offset:         56
        .size:           8
        .value_kind:     global_buffer
      - .offset:         64
        .size:           1
        .value_kind:     by_value
      - .offset:         65
        .size:           1
        .value_kind:     by_value
    .group_segment_fixed_size: 5120
    .kernarg_segment_align: 8
    .kernarg_segment_size: 68
    .language:       OpenCL C
    .language_version:
      - 2
      - 0
    .max_flat_workgroup_size: 128
    .name:           _ZN7rocprim17ROCPRIM_304000_NS6detail20lookback_scan_kernelILNS1_25lookback_scan_determinismE0ELb0ENS1_19wrapped_scan_configINS0_14default_configEiEEPKiPlSt4plusIvEiiNS1_19lookback_scan_stateIiLb0ELb1EEEEEvT2_T3_mT5_T4_T7_jPT6_SK_bb
    .private_segment_fixed_size: 0
    .sgpr_count:     30
    .sgpr_spill_count: 0
    .symbol:         _ZN7rocprim17ROCPRIM_304000_NS6detail20lookback_scan_kernelILNS1_25lookback_scan_determinismE0ELb0ENS1_19wrapped_scan_configINS0_14default_configEiEEPKiPlSt4plusIvEiiNS1_19lookback_scan_stateIiLb0ELb1EEEEEvT2_T3_mT5_T4_T7_jPT6_SK_bb.kd
    .uniform_work_group_size: 1
    .uses_dynamic_stack: false
    .vgpr_count:     40
    .vgpr_spill_count: 0
    .wavefront_size: 64
  - .agpr_count:     0
    .args:
      - .address_space:  global
        .offset:         0
        .size:           8
        .value_kind:     global_buffer
      - .offset:         8
        .size:           8
        .value_kind:     by_value
      - .offset:         16
        .size:           4
        .value_kind:     by_value
      - .address_space:  global
        .offset:         24
        .size:           8
        .value_kind:     global_buffer
      - .offset:         32
        .size:           1
        .value_kind:     by_value
    .group_segment_fixed_size: 5120
    .kernarg_segment_align: 8
    .kernarg_segment_size: 36
    .language:       OpenCL C
    .language_version:
      - 2
      - 0
    .max_flat_workgroup_size: 128
    .name:           _ZN7rocprim17ROCPRIM_304000_NS6detail18single_scan_kernelILb0ENS1_19wrapped_scan_configINS0_14default_configEiEEPKiPlSt4plusIvEiiEEvT1_mT4_T2_T3_
    .private_segment_fixed_size: 0
    .sgpr_count:     28
    .sgpr_spill_count: 0
    .symbol:         _ZN7rocprim17ROCPRIM_304000_NS6detail18single_scan_kernelILb0ENS1_19wrapped_scan_configINS0_14default_configEiEEPKiPlSt4plusIvEiiEEvT1_mT4_T2_T3_.kd
    .uniform_work_group_size: 1
    .uses_dynamic_stack: false
    .vgpr_count:     20
    .vgpr_spill_count: 0
    .wavefront_size: 64
  - .agpr_count:     0
    .args:
      - .address_space:  global
        .offset:         0
        .size:           8
        .value_kind:     global_buffer
      - .address_space:  global
        .offset:         8
        .size:           8
        .value_kind:     global_buffer
      - .offset:         16
        .size:           8
        .value_kind:     by_value
      - .offset:         24
        .size:           4
        .value_kind:     by_value
      - .offset:         28
        .size:           1
        .value_kind:     by_value
      - .address_space:  global
        .offset:         32
        .size:           8
        .value_kind:     global_buffer
      - .offset:         40
        .size:           4
        .value_kind:     by_value
      - .address_space:  global
        .offset:         48
        .size:           8
        .value_kind:     global_buffer
      - .address_space:  global
        .offset:         56
        .size:           8
        .value_kind:     global_buffer
      - .offset:         64
        .size:           1
        .value_kind:     by_value
      - .offset:         65
        .size:           1
        .value_kind:     by_value
    .group_segment_fixed_size: 0
    .kernarg_segment_align: 8
    .kernarg_segment_size: 68
    .language:       OpenCL C
    .language_version:
      - 2
      - 0
    .max_flat_workgroup_size: 128
    .name:           _ZN7rocprim17ROCPRIM_304000_NS6detail20lookback_scan_kernelILNS1_25lookback_scan_determinismE0ELb1ENS1_19wrapped_scan_configINS0_14default_configEiEEPKiPiN2at4cuda3cub12_GLOBAL__N_15SumOpIiEEiiNS1_19lookback_scan_stateIiLb1ELb1EEEEEvT2_T3_mT5_T4_T7_jPT6_SO_bb
    .private_segment_fixed_size: 0
    .sgpr_count:     4
    .sgpr_spill_count: 0
    .symbol:         _ZN7rocprim17ROCPRIM_304000_NS6detail20lookback_scan_kernelILNS1_25lookback_scan_determinismE0ELb1ENS1_19wrapped_scan_configINS0_14default_configEiEEPKiPiN2at4cuda3cub12_GLOBAL__N_15SumOpIiEEiiNS1_19lookback_scan_stateIiLb1ELb1EEEEEvT2_T3_mT5_T4_T7_jPT6_SO_bb.kd
    .uniform_work_group_size: 1
    .uses_dynamic_stack: false
    .vgpr_count:     0
    .vgpr_spill_count: 0
    .wavefront_size: 64
  - .agpr_count:     0
    .args:
      - .address_space:  global
        .offset:         0
        .size:           8
        .value_kind:     global_buffer
      - .address_space:  global
        .offset:         8
        .size:           8
        .value_kind:     global_buffer
      - .offset:         16
        .size:           8
        .value_kind:     by_value
      - .offset:         24
        .size:           4
        .value_kind:     by_value
      - .offset:         28
        .size:           1
        .value_kind:     by_value
      - .address_space:  global
        .offset:         32
        .size:           8
        .value_kind:     global_buffer
      - .offset:         40
        .size:           4
        .value_kind:     by_value
      - .address_space:  global
        .offset:         48
        .size:           8
        .value_kind:     global_buffer
      - .address_space:  global
        .offset:         56
        .size:           8
        .value_kind:     global_buffer
      - .offset:         64
        .size:           1
        .value_kind:     by_value
      - .offset:         65
        .size:           1
        .value_kind:     by_value
    .group_segment_fixed_size: 5120
    .kernarg_segment_align: 8
    .kernarg_segment_size: 68
    .language:       OpenCL C
    .language_version:
      - 2
      - 0
    .max_flat_workgroup_size: 128
    .name:           _ZN7rocprim17ROCPRIM_304000_NS6detail20lookback_scan_kernelILNS1_25lookback_scan_determinismE0ELb1ENS1_19wrapped_scan_configINS0_14default_configEiEEPKiPiN2at4cuda3cub12_GLOBAL__N_15SumOpIiEEiiNS1_19lookback_scan_stateIiLb0ELb1EEEEEvT2_T3_mT5_T4_T7_jPT6_SO_bb
    .private_segment_fixed_size: 0
    .sgpr_count:     32
    .sgpr_spill_count: 0
    .symbol:         _ZN7rocprim17ROCPRIM_304000_NS6detail20lookback_scan_kernelILNS1_25lookback_scan_determinismE0ELb1ENS1_19wrapped_scan_configINS0_14default_configEiEEPKiPiN2at4cuda3cub12_GLOBAL__N_15SumOpIiEEiiNS1_19lookback_scan_stateIiLb0ELb1EEEEEvT2_T3_mT5_T4_T7_jPT6_SO_bb.kd
    .uniform_work_group_size: 1
    .uses_dynamic_stack: false
    .vgpr_count:     41
    .vgpr_spill_count: 0
    .wavefront_size: 64
  - .agpr_count:     0
    .args:
      - .address_space:  global
        .offset:         0
        .size:           8
        .value_kind:     global_buffer
      - .offset:         8
        .size:           8
        .value_kind:     by_value
      - .offset:         16
        .size:           4
        .value_kind:     by_value
      - .address_space:  global
        .offset:         24
        .size:           8
        .value_kind:     global_buffer
      - .offset:         32
        .size:           1
        .value_kind:     by_value
    .group_segment_fixed_size: 5120
    .kernarg_segment_align: 8
    .kernarg_segment_size: 36
    .language:       OpenCL C
    .language_version:
      - 2
      - 0
    .max_flat_workgroup_size: 128
    .name:           _ZN7rocprim17ROCPRIM_304000_NS6detail18single_scan_kernelILb1ENS1_19wrapped_scan_configINS0_14default_configEiEEPKiPiN2at4cuda3cub12_GLOBAL__N_15SumOpIiEEiiEEvT1_mT4_T2_T3_
    .private_segment_fixed_size: 0
    .sgpr_count:     29
    .sgpr_spill_count: 0
    .symbol:         _ZN7rocprim17ROCPRIM_304000_NS6detail18single_scan_kernelILb1ENS1_19wrapped_scan_configINS0_14default_configEiEEPKiPiN2at4cuda3cub12_GLOBAL__N_15SumOpIiEEiiEEvT1_mT4_T2_T3_.kd
    .uniform_work_group_size: 1
    .uses_dynamic_stack: false
    .vgpr_count:     19
    .vgpr_spill_count: 0
    .wavefront_size: 64
  - .agpr_count:     0
    .args:
      - .address_space:  global
        .offset:         0
        .size:           8
        .value_kind:     global_buffer
      - .address_space:  global
        .offset:         8
        .size:           8
        .value_kind:     global_buffer
      - .offset:         16
        .size:           8
        .value_kind:     by_value
      - .offset:         24
        .size:           8
        .value_kind:     by_value
      - .offset:         32
        .size:           1
        .value_kind:     by_value
      - .address_space:  global
        .offset:         40
        .size:           8
        .value_kind:     global_buffer
      - .offset:         48
        .size:           4
        .value_kind:     by_value
      - .address_space:  global
        .offset:         56
        .size:           8
        .value_kind:     global_buffer
      - .address_space:  global
        .offset:         64
        .size:           8
        .value_kind:     global_buffer
      - .offset:         72
        .size:           1
        .value_kind:     by_value
      - .offset:         73
        .size:           1
        .value_kind:     by_value
    .group_segment_fixed_size: 0
    .kernarg_segment_align: 8
    .kernarg_segment_size: 76
    .language:       OpenCL C
    .language_version:
      - 2
      - 0
    .max_flat_workgroup_size: 64
    .name:           _ZN7rocprim17ROCPRIM_304000_NS6detail20lookback_scan_kernelILNS1_25lookback_scan_determinismE0ELb1ENS1_19wrapped_scan_configINS0_14default_configElEEPKlPlN2at4cuda3cub12_GLOBAL__N_15SumOpIlEEllNS1_19lookback_scan_stateIlLb1ELb1EEEEEvT2_T3_mT5_T4_T7_jPT6_SO_bb
    .private_segment_fixed_size: 0
    .sgpr_count:     4
    .sgpr_spill_count: 0
    .symbol:         _ZN7rocprim17ROCPRIM_304000_NS6detail20lookback_scan_kernelILNS1_25lookback_scan_determinismE0ELb1ENS1_19wrapped_scan_configINS0_14default_configElEEPKlPlN2at4cuda3cub12_GLOBAL__N_15SumOpIlEEllNS1_19lookback_scan_stateIlLb1ELb1EEEEEvT2_T3_mT5_T4_T7_jPT6_SO_bb.kd
    .uniform_work_group_size: 1
    .uses_dynamic_stack: false
    .vgpr_count:     0
    .vgpr_spill_count: 0
    .wavefront_size: 64
  - .agpr_count:     0
    .args:
      - .address_space:  global
        .offset:         0
        .size:           8
        .value_kind:     global_buffer
      - .address_space:  global
        .offset:         8
        .size:           8
        .value_kind:     global_buffer
      - .offset:         16
        .size:           8
        .value_kind:     by_value
      - .offset:         24
        .size:           8
        .value_kind:     by_value
      - .offset:         32
        .size:           1
        .value_kind:     by_value
      - .address_space:  global
        .offset:         40
        .size:           8
        .value_kind:     global_buffer
      - .offset:         48
        .size:           4
        .value_kind:     by_value
      - .address_space:  global
        .offset:         56
        .size:           8
        .value_kind:     global_buffer
      - .address_space:  global
        .offset:         64
        .size:           8
        .value_kind:     global_buffer
      - .offset:         72
        .size:           1
        .value_kind:     by_value
      - .offset:         73
        .size:           1
        .value_kind:     by_value
    .group_segment_fixed_size: 10752
    .kernarg_segment_align: 8
    .kernarg_segment_size: 76
    .language:       OpenCL C
    .language_version:
      - 2
      - 0
    .max_flat_workgroup_size: 64
    .name:           _ZN7rocprim17ROCPRIM_304000_NS6detail20lookback_scan_kernelILNS1_25lookback_scan_determinismE0ELb1ENS1_19wrapped_scan_configINS0_14default_configElEEPKlPlN2at4cuda3cub12_GLOBAL__N_15SumOpIlEEllNS1_19lookback_scan_stateIlLb0ELb1EEEEEvT2_T3_mT5_T4_T7_jPT6_SO_bb
    .private_segment_fixed_size: 0
    .sgpr_count:     32
    .sgpr_spill_count: 0
    .symbol:         _ZN7rocprim17ROCPRIM_304000_NS6detail20lookback_scan_kernelILNS1_25lookback_scan_determinismE0ELb1ENS1_19wrapped_scan_configINS0_14default_configElEEPKlPlN2at4cuda3cub12_GLOBAL__N_15SumOpIlEEllNS1_19lookback_scan_stateIlLb0ELb1EEEEEvT2_T3_mT5_T4_T7_jPT6_SO_bb.kd
    .uniform_work_group_size: 1
    .uses_dynamic_stack: false
    .vgpr_count:     89
    .vgpr_spill_count: 0
    .wavefront_size: 64
  - .agpr_count:     0
    .args:
      - .address_space:  global
        .offset:         0
        .size:           8
        .value_kind:     global_buffer
      - .offset:         8
        .size:           8
        .value_kind:     by_value
      - .offset:         16
        .size:           8
        .value_kind:     by_value
      - .address_space:  global
        .offset:         24
        .size:           8
        .value_kind:     global_buffer
      - .offset:         32
        .size:           1
        .value_kind:     by_value
    .group_segment_fixed_size: 10752
    .kernarg_segment_align: 8
    .kernarg_segment_size: 36
    .language:       OpenCL C
    .language_version:
      - 2
      - 0
    .max_flat_workgroup_size: 64
    .name:           _ZN7rocprim17ROCPRIM_304000_NS6detail18single_scan_kernelILb1ENS1_19wrapped_scan_configINS0_14default_configElEEPKlPlN2at4cuda3cub12_GLOBAL__N_15SumOpIlEEllEEvT1_mT4_T2_T3_
    .private_segment_fixed_size: 0
    .sgpr_count:     58
    .sgpr_spill_count: 0
    .symbol:         _ZN7rocprim17ROCPRIM_304000_NS6detail18single_scan_kernelILb1ENS1_19wrapped_scan_configINS0_14default_configElEEPKlPlN2at4cuda3cub12_GLOBAL__N_15SumOpIlEEllEEvT1_mT4_T2_T3_.kd
    .uniform_work_group_size: 1
    .uses_dynamic_stack: false
    .vgpr_count:     52
    .vgpr_spill_count: 0
    .wavefront_size: 64
  - .agpr_count:     0
    .args:
      - .offset:         0
        .size:           16
        .value_kind:     by_value
      - .address_space:  global
        .offset:         16
        .size:           8
        .value_kind:     global_buffer
      - .offset:         24
        .size:           8
        .value_kind:     by_value
      - .offset:         32
        .size:           8
        .value_kind:     by_value
      - .offset:         40
        .size:           1
        .value_kind:     by_value
      - .address_space:  global
        .offset:         48
        .size:           8
        .value_kind:     global_buffer
      - .offset:         56
        .size:           4
        .value_kind:     by_value
      - .address_space:  global
        .offset:         64
        .size:           8
        .value_kind:     global_buffer
      - .address_space:  global
        .offset:         72
        .size:           8
        .value_kind:     global_buffer
      - .offset:         80
        .size:           1
        .value_kind:     by_value
      - .offset:         81
        .size:           1
        .value_kind:     by_value
    .group_segment_fixed_size: 0
    .kernarg_segment_align: 8
    .kernarg_segment_size: 84
    .language:       OpenCL C
    .language_version:
      - 2
      - 0
    .max_flat_workgroup_size: 64
    .name:           _ZN7rocprim17ROCPRIM_304000_NS6detail20lookback_scan_kernelILNS1_25lookback_scan_determinismE0ELb1ENS1_19wrapped_scan_configINS0_14default_configElEEN6hipcub22TransformInputIteratorIbN2at4cuda3cub12_GLOBAL__N_111CountMaskOpEPKhlEEPlNSC_5SumOpIlEEllNS1_19lookback_scan_stateIlLb1ELb1EEEEEvT2_T3_mT5_T4_T7_jPT6_SS_bb
    .private_segment_fixed_size: 0
    .sgpr_count:     4
    .sgpr_spill_count: 0
    .symbol:         _ZN7rocprim17ROCPRIM_304000_NS6detail20lookback_scan_kernelILNS1_25lookback_scan_determinismE0ELb1ENS1_19wrapped_scan_configINS0_14default_configElEEN6hipcub22TransformInputIteratorIbN2at4cuda3cub12_GLOBAL__N_111CountMaskOpEPKhlEEPlNSC_5SumOpIlEEllNS1_19lookback_scan_stateIlLb1ELb1EEEEEvT2_T3_mT5_T4_T7_jPT6_SS_bb.kd
    .uniform_work_group_size: 1
    .uses_dynamic_stack: false
    .vgpr_count:     0
    .vgpr_spill_count: 0
    .wavefront_size: 64
  - .agpr_count:     0
    .args:
      - .offset:         0
        .size:           16
        .value_kind:     by_value
      - .address_space:  global
        .offset:         16
        .size:           8
        .value_kind:     global_buffer
      - .offset:         24
        .size:           8
        .value_kind:     by_value
      - .offset:         32
        .size:           8
        .value_kind:     by_value
      - .offset:         40
        .size:           1
        .value_kind:     by_value
      - .address_space:  global
        .offset:         48
        .size:           8
        .value_kind:     global_buffer
      - .offset:         56
        .size:           4
        .value_kind:     by_value
      - .address_space:  global
        .offset:         64
        .size:           8
        .value_kind:     global_buffer
      - .address_space:  global
        .offset:         72
        .size:           8
        .value_kind:     global_buffer
      - .offset:         80
        .size:           1
        .value_kind:     by_value
      - .offset:         81
        .size:           1
        .value_kind:     by_value
    .group_segment_fixed_size: 10752
    .kernarg_segment_align: 8
    .kernarg_segment_size: 84
    .language:       OpenCL C
    .language_version:
      - 2
      - 0
    .max_flat_workgroup_size: 64
    .name:           _ZN7rocprim17ROCPRIM_304000_NS6detail20lookback_scan_kernelILNS1_25lookback_scan_determinismE0ELb1ENS1_19wrapped_scan_configINS0_14default_configElEEN6hipcub22TransformInputIteratorIbN2at4cuda3cub12_GLOBAL__N_111CountMaskOpEPKhlEEPlNSC_5SumOpIlEEllNS1_19lookback_scan_stateIlLb0ELb1EEEEEvT2_T3_mT5_T4_T7_jPT6_SS_bb
    .private_segment_fixed_size: 0
    .sgpr_count:     32
    .sgpr_spill_count: 0
    .symbol:         _ZN7rocprim17ROCPRIM_304000_NS6detail20lookback_scan_kernelILNS1_25lookback_scan_determinismE0ELb1ENS1_19wrapped_scan_configINS0_14default_configElEEN6hipcub22TransformInputIteratorIbN2at4cuda3cub12_GLOBAL__N_111CountMaskOpEPKhlEEPlNSC_5SumOpIlEEllNS1_19lookback_scan_stateIlLb0ELb1EEEEEvT2_T3_mT5_T4_T7_jPT6_SS_bb.kd
    .uniform_work_group_size: 1
    .uses_dynamic_stack: false
    .vgpr_count:     89
    .vgpr_spill_count: 0
    .wavefront_size: 64
  - .agpr_count:     0
    .args:
      - .offset:         0
        .size:           16
        .value_kind:     by_value
      - .offset:         16
        .size:           8
        .value_kind:     by_value
      - .offset:         24
        .size:           8
        .value_kind:     by_value
      - .address_space:  global
        .offset:         32
        .size:           8
        .value_kind:     global_buffer
      - .offset:         40
        .size:           1
        .value_kind:     by_value
    .group_segment_fixed_size: 10752
    .kernarg_segment_align: 8
    .kernarg_segment_size: 44
    .language:       OpenCL C
    .language_version:
      - 2
      - 0
    .max_flat_workgroup_size: 64
    .name:           _ZN7rocprim17ROCPRIM_304000_NS6detail18single_scan_kernelILb1ENS1_19wrapped_scan_configINS0_14default_configElEEN6hipcub22TransformInputIteratorIbN2at4cuda3cub12_GLOBAL__N_111CountMaskOpEPKhlEEPlNSB_5SumOpIlEEllEEvT1_mT4_T2_T3_
    .private_segment_fixed_size: 0
    .sgpr_count:     58
    .sgpr_spill_count: 0
    .symbol:         _ZN7rocprim17ROCPRIM_304000_NS6detail18single_scan_kernelILb1ENS1_19wrapped_scan_configINS0_14default_configElEEN6hipcub22TransformInputIteratorIbN2at4cuda3cub12_GLOBAL__N_111CountMaskOpEPKhlEEPlNSB_5SumOpIlEEllEEvT1_mT4_T2_T3_.kd
    .uniform_work_group_size: 1
    .uses_dynamic_stack: false
    .vgpr_count:     52
    .vgpr_spill_count: 0
    .wavefront_size: 64
amdhsa.target:   amdgcn-amd-amdhsa--gfx90a
amdhsa.version:
  - 1
  - 2
...

	.end_amdgpu_metadata
